;; amdgpu-corpus repo=ROCm/rocFFT kind=compiled arch=gfx1030 opt=O3
	.text
	.amdgcn_target "amdgcn-amd-amdhsa--gfx1030"
	.amdhsa_code_object_version 6
	.protected	bluestein_single_back_len544_dim1_dp_op_CI_CI ; -- Begin function bluestein_single_back_len544_dim1_dp_op_CI_CI
	.globl	bluestein_single_back_len544_dim1_dp_op_CI_CI
	.p2align	8
	.type	bluestein_single_back_len544_dim1_dp_op_CI_CI,@function
bluestein_single_back_len544_dim1_dp_op_CI_CI: ; @bluestein_single_back_len544_dim1_dp_op_CI_CI
; %bb.0:
	s_mov_b64 s[62:63], s[2:3]
	s_mov_b64 s[60:61], s[0:1]
	s_load_dwordx4 s[0:3], s[4:5], 0x28
	v_mul_u32_u24_e32 v1, 0x788, v0
	s_add_u32 s60, s60, s7
	s_addc_u32 s61, s61, 0
	v_lshrrev_b32_e32 v1, 16, v1
	v_mad_u64_u32 v[207:208], null, s6, 3, v[1:2]
	v_mov_b32_e32 v208, 0
                                        ; kill: def $vgpr2 killed $sgpr0 killed $exec
	s_waitcnt lgkmcnt(0)
	v_cmp_gt_u64_e32 vcc_lo, s[0:1], v[207:208]
	s_and_saveexec_b32 s0, vcc_lo
	s_cbranch_execz .LBB0_15
; %bb.1:
	v_mul_hi_u32 v2, 0xaaaaaaab, v207
	v_mul_lo_u16 v1, v1, 34
	s_clause 0x1
	s_load_dwordx2 s[12:13], s[4:5], 0x0
	s_load_dwordx2 s[14:15], s[4:5], 0x38
	v_sub_nc_u16 v0, v0, v1
	v_lshrrev_b32_e32 v1, 1, v2
	v_and_b32_e32 v220, 0xffff, v0
	v_cmp_gt_u16_e32 vcc_lo, 32, v0
	v_lshl_add_u32 v1, v1, 1, v1
	v_lshlrev_b32_e32 v206, 4, v220
	v_or_b32_e32 v253, 0x160, v220
	v_sub_nc_u32_e32 v0, v207, v1
	v_or_b32_e32 v1, 32, v220
	v_or_b32_e32 v193, 0x180, v220
	;; [unrolled: 1-line block ×3, first 2 shown]
	v_mul_u32_u24_e32 v168, 0x220, v0
	v_or_b32_e32 v0, 0xa0, v220
	buffer_store_dword v1, off, s[60:63], 0 offset:232 ; 4-byte Folded Spill
	v_or_b32_e32 v1, 64, v220
	buffer_store_dword v0, off, s[60:63], 0 offset:216 ; 4-byte Folded Spill
	;; [unrolled: 2-line block ×9, first 2 shown]
	v_or_b32_e32 v1, 0x140, v220
	v_lshlrev_b32_e32 v208, 4, v0
	buffer_store_dword v1, off, s[60:63], 0 offset:196 ; 4-byte Folded Spill
	s_and_saveexec_b32 s1, vcc_lo
	s_cbranch_execz .LBB0_3
; %bb.2:
	s_load_dwordx2 s[6:7], s[4:5], 0x18
	v_or_b32_e32 v28, 32, v220
	v_or_b32_e32 v45, 0xa0, v220
	;; [unrolled: 1-line block ×9, first 2 shown]
	v_lshlrev_b32_e32 v44, 4, v39
	v_or_b32_e32 v82, 0x120, v220
	v_or_b32_e32 v118, 0x1c0, v220
	;; [unrolled: 1-line block ×3, first 2 shown]
	v_lshlrev_b32_e32 v92, 4, v89
	v_or_b32_e32 v121, 0x200, v220
	v_lshlrev_b32_e32 v62, 4, v57
	v_lshlrev_b32_e32 v125, 4, v118
	;; [unrolled: 1-line block ×4, first 2 shown]
	s_waitcnt lgkmcnt(0)
	s_load_dwordx4 s[8:11], s[6:7], 0x0
	s_clause 0x2
	global_load_dwordx4 v[0:3], v206, s[12:13]
	global_load_dwordx4 v[4:7], v206, s[12:13] offset:512
	global_load_dwordx4 v[8:11], v206, s[12:13] offset:1024
	v_lshlrev_b32_e32 v124, 4, v188
	v_lshlrev_b32_e32 v126, 4, v120
	;; [unrolled: 1-line block ×3, first 2 shown]
	v_lshl_add_u32 v171, v168, 4, v206
	s_waitcnt lgkmcnt(0)
	v_mad_u64_u32 v[12:13], null, s10, v207, 0
	v_mad_u64_u32 v[14:15], null, s8, v220, 0
	;; [unrolled: 1-line block ×11, first 2 shown]
	v_mov_b32_e32 v24, v37
	v_mad_u64_u32 v[27:28], null, s9, v28, v[17:18]
	v_mov_b32_e32 v13, v25
	v_mad_u64_u32 v[28:29], null, s9, v29, v[19:20]
	v_mad_u64_u32 v[29:30], null, s9, v30, v[21:22]
	;; [unrolled: 1-line block ×4, first 2 shown]
	v_mov_b32_e32 v15, v26
	v_lshlrev_b64 v[12:13], 4, v[12:13]
	v_mov_b32_e32 v38, v51
	v_mov_b32_e32 v39, v53
	;; [unrolled: 1-line block ×3, first 2 shown]
	v_mad_u64_u32 v[58:59], null, s8, v72, 0
	v_lshlrev_b64 v[14:15], 4, v[14:15]
	v_mad_u64_u32 v[40:41], null, s9, v56, v[38:39]
	v_mov_b32_e32 v19, v28
	v_add_co_u32 v48, s0, s2, v12
	v_lshlrev_b64 v[16:17], 4, v[16:17]
	v_add_co_ci_u32_e64 v49, s0, s3, v13, s0
	v_mov_b32_e32 v21, v29
	v_mad_u64_u32 v[78:79], null, s8, v89, 0
	v_lshlrev_b64 v[18:19], 4, v[18:19]
	v_add_co_u32 v14, s0, v48, v14
	v_mov_b32_e32 v54, v59
	v_mad_u64_u32 v[66:67], null, s8, v82, 0
	v_mov_b32_e32 v23, v30
	v_mad_u64_u32 v[86:87], null, s8, v253, 0
	v_add_co_ci_u32_e64 v15, s0, v49, v15, s0
	v_mad_u64_u32 v[41:42], null, s9, v57, v[39:40]
	v_lshlrev_b64 v[20:21], 4, v[20:21]
	v_add_co_u32 v16, s0, v48, v16
	v_add_co_ci_u32_e64 v17, s0, v49, v17, s0
	v_mad_u64_u32 v[54:55], null, s9, v72, v[54:55]
	v_lshlrev_b64 v[12:13], 4, v[22:23]
	v_add_co_u32 v18, s0, v48, v18
	v_mov_b32_e32 v70, v79
	v_mov_b32_e32 v51, v40
	v_add_co_ci_u32_e64 v19, s0, v49, v19, s0
	v_lshlrev_b32_e32 v56, 4, v56
	v_mov_b32_e32 v55, v67
	v_add_co_u32 v20, s0, v48, v20
	v_lshlrev_b64 v[36:37], 4, v[36:37]
	v_mov_b32_e32 v80, v87
	v_mov_b32_e32 v53, v41
	v_add_co_ci_u32_e64 v21, s0, v49, v21, s0
	v_mad_u64_u32 v[70:71], null, s9, v89, v[70:71]
	v_add_co_u32 v24, s0, v48, v12
	v_lshlrev_b64 v[50:51], 4, v[50:51]
	v_mov_b32_e32 v59, v54
	v_mad_u64_u32 v[67:68], null, s9, v82, v[55:56]
	v_add_co_ci_u32_e64 v25, s0, v49, v13, s0
	v_mad_u64_u32 v[80:81], null, s9, v253, v[80:81]
	v_add_co_u32 v42, s0, v48, v36
	v_lshlrev_b64 v[52:53], 4, v[52:53]
	v_add_co_ci_u32_e64 v43, s0, v49, v37, s0
	v_add_co_u32 v50, s0, v48, v50
	v_lshlrev_b64 v[68:69], 4, v[58:59]
	v_mov_b32_e32 v79, v70
	v_mad_u64_u32 v[98:99], null, s8, v193, 0
	v_add_co_ci_u32_e64 v51, s0, v49, v51, s0
	v_add_co_u32 v60, s0, v48, v52
	v_lshlrev_b64 v[66:67], 4, v[66:67]
	v_mov_b32_e32 v87, v80
	v_add_co_ci_u32_e64 v61, s0, v49, v53, s0
	v_add_co_u32 v68, s0, v48, v68
	v_lshlrev_b64 v[78:79], 4, v[78:79]
	v_mad_u64_u32 v[100:101], null, s8, v188, 0
	v_add_co_ci_u32_e64 v69, s0, v49, v69, s0
	v_add_co_u32 v74, s0, v48, v66
	v_mov_b32_e32 v88, v99
	v_lshlrev_b64 v[86:87], 4, v[86:87]
	v_add_co_ci_u32_e64 v75, s0, v49, v67, s0
	v_lshlrev_b32_e32 v81, 4, v82
	v_add_co_u32 v82, s0, v48, v78
	v_mad_u64_u32 v[110:111], null, s8, v118, 0
	v_mad_u64_u32 v[112:113], null, s8, v120, 0
	v_add_co_ci_u32_e64 v83, s0, v49, v79, s0
	v_mad_u64_u32 v[88:89], null, s9, v193, v[88:89]
	v_mov_b32_e32 v89, v101
	v_add_co_u32 v90, s0, v48, v86
	v_mov_b32_e32 v103, v113
	v_add_co_ci_u32_e64 v91, s0, v49, v87, s0
	v_mad_u64_u32 v[101:102], null, s9, v188, v[89:90]
	v_mov_b32_e32 v102, v111
	v_mov_b32_e32 v99, v88
	v_lshlrev_b32_e32 v45, 4, v45
	s_clause 0x3
	global_load_dwordx4 v[32:35], v[14:15], off
	global_load_dwordx4 v[28:31], v[16:17], off
	;; [unrolled: 1-line block ×4, first 2 shown]
	global_load_dwordx4 v[20:23], v206, s[12:13] offset:1536
	global_load_dwordx4 v[24:27], v[24:25], off
	global_load_dwordx4 v[36:39], v44, s[12:13]
	v_mad_u64_u32 v[104:105], null, s9, v118, v[102:103]
	v_lshlrev_b64 v[98:99], 4, v[98:99]
	v_lshlrev_b64 v[100:101], 4, v[100:101]
	v_lshlrev_b32_e32 v71, 4, v72
	global_load_dwordx4 v[40:43], v[42:43], off
	global_load_dwordx4 v[44:47], v45, s[12:13]
	global_load_dwordx4 v[50:53], v[50:51], off
	global_load_dwordx4 v[54:57], v56, s[12:13]
	;; [unrolled: 2-line block ×3, first 2 shown]
	v_mad_u64_u32 v[113:114], null, s9, v120, v[103:104]
	v_mad_u64_u32 v[114:115], null, s8, v121, 0
	v_mov_b32_e32 v111, v104
	v_add_co_u32 v98, s0, v48, v98
	v_add_co_ci_u32_e64 v99, s0, v49, v99, s0
	v_lshlrev_b64 v[110:111], 4, v[110:111]
	v_mad_u64_u32 v[115:116], null, s9, v121, v[115:116]
	v_add_co_u32 v106, s0, v48, v100
	v_lshlrev_b64 v[112:113], 4, v[112:113]
	v_add_co_ci_u32_e64 v107, s0, v49, v101, s0
	v_add_co_u32 v116, s0, v48, v110
	v_lshlrev_b64 v[118:119], 4, v[114:115]
	global_load_dwordx4 v[66:69], v[68:69], off
	global_load_dwordx4 v[70:73], v71, s[12:13]
	global_load_dwordx4 v[74:77], v[74:75], off
	global_load_dwordx4 v[78:81], v81, s[12:13]
	v_add_co_ci_u32_e64 v117, s0, v49, v111, s0
	global_load_dwordx4 v[82:85], v[82:83], off
	v_add_co_u32 v122, s0, v48, v112
	global_load_dwordx4 v[86:89], v92, s[12:13]
	global_load_dwordx4 v[90:93], v[90:91], off
	global_load_dwordx4 v[94:97], v94, s[12:13]
	global_load_dwordx4 v[98:101], v[98:99], off
	v_add_co_ci_u32_e64 v123, s0, v49, v113, s0
	global_load_dwordx4 v[102:105], v108, s[12:13]
	global_load_dwordx4 v[106:109], v[106:107], off
	v_add_co_u32 v48, s0, v48, v118
	global_load_dwordx4 v[110:113], v124, s[12:13]
	global_load_dwordx4 v[114:117], v[116:117], off
	v_add_co_ci_u32_e64 v49, s0, v49, v119, s0
	global_load_dwordx4 v[118:121], v125, s[12:13]
	global_load_dwordx4 v[122:125], v[122:123], off
	s_clause 0x1
	global_load_dwordx4 v[126:129], v126, s[12:13]
	global_load_dwordx4 v[130:133], v130, s[12:13]
	global_load_dwordx4 v[134:137], v[48:49], off
	s_waitcnt vmcnt(30)
	v_mul_f64 v[48:49], v[34:35], v[2:3]
	v_mul_f64 v[2:3], v[32:33], v[2:3]
	s_waitcnt vmcnt(29)
	v_mul_f64 v[138:139], v[30:31], v[6:7]
	v_mul_f64 v[6:7], v[28:29], v[6:7]
	;; [unrolled: 3-line block ×8, first 2 shown]
	v_fma_f64 v[32:33], v[32:33], v[0:1], v[48:49]
	v_fma_f64 v[34:35], v[34:35], v[0:1], -v[2:3]
	v_fma_f64 v[0:1], v[28:29], v[4:5], v[138:139]
	v_fma_f64 v[2:3], v[30:31], v[4:5], -v[6:7]
	;; [unrolled: 2-line block ×5, first 2 shown]
	v_fma_f64 v[16:17], v[40:41], v[44:45], v[146:147]
	s_waitcnt vmcnt(16)
	v_mul_f64 v[152:153], v[68:69], v[72:73]
	v_mul_f64 v[72:73], v[66:67], v[72:73]
	s_waitcnt vmcnt(14)
	v_mul_f64 v[154:155], v[76:77], v[80:81]
	v_mul_f64 v[80:81], v[74:75], v[80:81]
	v_fma_f64 v[18:19], v[42:43], v[44:45], -v[46:47]
	v_fma_f64 v[20:21], v[50:51], v[54:55], v[148:149]
	s_waitcnt vmcnt(12)
	v_mul_f64 v[156:157], v[84:85], v[88:89]
	v_mul_f64 v[88:89], v[82:83], v[88:89]
	s_waitcnt vmcnt(10)
	v_mul_f64 v[158:159], v[92:93], v[96:97]
	v_mul_f64 v[96:97], v[90:91], v[96:97]
	v_fma_f64 v[22:23], v[52:53], v[54:55], -v[56:57]
	s_waitcnt vmcnt(8)
	v_mul_f64 v[160:161], v[100:101], v[104:105]
	v_mul_f64 v[104:105], v[98:99], v[104:105]
	v_fma_f64 v[24:25], v[58:59], v[62:63], v[150:151]
	s_waitcnt vmcnt(6)
	v_mul_f64 v[162:163], v[108:109], v[112:113]
	v_mul_f64 v[112:113], v[106:107], v[112:113]
	s_waitcnt vmcnt(4)
	v_mul_f64 v[164:165], v[116:117], v[120:121]
	v_mul_f64 v[120:121], v[114:115], v[120:121]
	;; [unrolled: 3-line block ×4, first 2 shown]
	v_fma_f64 v[26:27], v[60:61], v[62:63], -v[64:65]
	v_fma_f64 v[28:29], v[66:67], v[70:71], v[152:153]
	v_fma_f64 v[30:31], v[68:69], v[70:71], -v[72:73]
	v_fma_f64 v[36:37], v[74:75], v[78:79], v[154:155]
	;; [unrolled: 2-line block ×9, first 2 shown]
	v_fma_f64 v[66:67], v[136:137], v[130:131], -v[132:133]
	ds_write_b128 v208, v[32:35]
	ds_write_b128 v171, v[0:3] offset:512
	ds_write_b128 v171, v[4:7] offset:1024
	;; [unrolled: 1-line block ×16, first 2 shown]
.LBB0_3:
	s_or_b32 exec_lo, exec_lo, s1
	s_clause 0x1
	s_load_dwordx2 s[0:1], s[4:5], 0x20
	s_load_dwordx2 s[2:3], s[4:5], 0x8
	v_lshlrev_b32_e32 v209, 4, v168
	s_waitcnt lgkmcnt(0)
	s_waitcnt_vscnt null, 0x0
	s_barrier
	buffer_gl0_inv
                                        ; implicit-def: $vgpr4_vgpr5
                                        ; implicit-def: $vgpr44_vgpr45
                                        ; implicit-def: $vgpr32_vgpr33
                                        ; implicit-def: $vgpr12_vgpr13
                                        ; implicit-def: $vgpr8_vgpr9
                                        ; implicit-def: $vgpr16_vgpr17
                                        ; implicit-def: $vgpr20_vgpr21
                                        ; implicit-def: $vgpr24_vgpr25
                                        ; implicit-def: $vgpr28_vgpr29
                                        ; implicit-def: $vgpr36_vgpr37
                                        ; implicit-def: $vgpr40_vgpr41
                                        ; implicit-def: $vgpr48_vgpr49
                                        ; implicit-def: $vgpr52_vgpr53
                                        ; implicit-def: $vgpr56_vgpr57
                                        ; implicit-def: $vgpr60_vgpr61
                                        ; implicit-def: $vgpr64_vgpr65
                                        ; implicit-def: $vgpr68_vgpr69
	s_and_saveexec_b32 s4, vcc_lo
	s_cbranch_execz .LBB0_5
; %bb.4:
	v_lshl_add_u32 v0, v220, 4, v209
	ds_read_b128 v[4:7], v208
	ds_read_b128 v[68:71], v0 offset:512
	ds_read_b128 v[64:67], v0 offset:1024
	;; [unrolled: 1-line block ×16, first 2 shown]
.LBB0_5:
	s_or_b32 exec_lo, exec_lo, s4
	s_waitcnt lgkmcnt(0)
	v_add_f64 v[158:159], v[70:71], -v[10:11]
	v_add_f64 v[162:163], v[68:69], -v[8:9]
	s_mov_b32 s4, 0x5d8e7cdc
	s_mov_b32 s5, 0xbfd71e95
	v_add_f64 v[156:157], v[8:9], v[68:69]
	v_add_f64 v[164:165], v[10:11], v[70:71]
	v_add_f64 v[102:103], v[66:67], -v[14:15]
	v_add_f64 v[72:73], v[64:65], -v[12:13]
	s_mov_b32 s6, 0x370991
	s_mov_b32 s8, 0x2a9d6da3
	;; [unrolled: 1-line block ×4, first 2 shown]
	v_add_f64 v[74:75], v[12:13], v[64:65]
	v_add_f64 v[106:107], v[14:15], v[66:67]
	v_add_f64 v[110:111], v[62:63], -v[18:19]
	v_add_f64 v[76:77], v[60:61], -v[16:17]
	s_mov_b32 s10, 0x75d4884
	s_mov_b32 s16, 0x7c9e640b
	;; [unrolled: 1-line block ×4, first 2 shown]
	v_add_f64 v[78:79], v[16:17], v[60:61]
	v_add_f64 v[112:113], v[18:19], v[62:63]
	v_mul_f64 v[160:161], v[158:159], s[4:5]
	v_mul_f64 v[166:167], v[162:163], s[4:5]
	v_add_f64 v[80:81], v[56:57], -v[20:21]
	v_add_f64 v[114:115], v[58:59], -v[22:23]
	s_mov_b32 s18, 0x2b2883cd
	s_mov_b32 s36, 0xeb564b22
	v_mul_f64 v[128:129], v[102:103], s[8:9]
	v_mul_f64 v[130:131], v[72:73], s[8:9]
	s_mov_b32 s19, 0x3fdc86fa
	s_mov_b32 s37, 0xbfefdd0d
	v_add_f64 v[82:83], v[20:21], v[56:57]
	v_add_f64 v[116:117], v[22:23], v[58:59]
	v_add_f64 v[84:85], v[52:53], -v[24:25]
	v_add_f64 v[118:119], v[54:55], -v[26:27]
	v_mul_f64 v[132:133], v[110:111], s[16:17]
	v_mul_f64 v[134:135], v[76:77], s[16:17]
	s_mov_b32 s20, 0x3259b75e
	s_mov_b32 s24, 0x923c349f
	;; [unrolled: 1-line block ×4, first 2 shown]
	v_add_f64 v[120:121], v[26:27], v[54:55]
	v_add_f64 v[122:123], v[46:47], -v[30:31]
	v_fma_f64 v[0:1], v[156:157], s[6:7], v[160:161]
	v_fma_f64 v[2:3], v[164:165], s[6:7], -v[166:167]
	v_mul_f64 v[138:139], v[80:81], s[36:37]
	v_mul_f64 v[136:137], v[114:115], s[36:37]
	s_mov_b32 s28, 0xc61f0d01
	s_mov_b32 s22, 0x6c9a05f6
	v_fma_f64 v[86:87], v[74:75], s[10:11], v[128:129]
	v_fma_f64 v[88:89], v[106:107], s[10:11], -v[130:131]
	s_mov_b32 s29, 0xbfd183b1
	s_mov_b32 s23, 0xbfe9895b
	v_add_f64 v[124:125], v[46:47], v[30:31]
	v_add_f64 v[100:101], v[50:51], -v[38:39]
	v_mul_f64 v[142:143], v[84:85], s[24:25]
	v_mul_f64 v[140:141], v[118:119], s[24:25]
	v_fma_f64 v[90:91], v[78:79], s[18:19], v[132:133]
	v_fma_f64 v[92:93], v[112:113], s[18:19], -v[134:135]
	s_mov_b32 s26, 0x6ed5f1bb
	s_mov_b32 s30, 0x4363dd80
	;; [unrolled: 1-line block ×4, first 2 shown]
	v_add_f64 v[126:127], v[38:39], v[50:51]
	v_mul_f64 v[144:145], v[122:123], s[22:23]
	v_add_f64 v[0:1], v[4:5], v[0:1]
	v_add_f64 v[2:3], v[6:7], v[2:3]
	v_fma_f64 v[96:97], v[116:117], s[20:21], -v[138:139]
	v_fma_f64 v[94:95], v[82:83], s[20:21], v[136:137]
	v_add_f64 v[104:105], v[42:43], -v[34:35]
	s_mov_b32 s34, 0x910ea3b9
	s_mov_b32 s40, 0xacd6c6b4
	;; [unrolled: 1-line block ×6, first 2 shown]
	v_mul_f64 v[148:149], v[100:101], s[30:31]
	v_fma_f64 v[108:109], v[120:121], s[28:29], -v[142:143]
	s_barrier
	buffer_gl0_inv
	v_add_f64 v[0:1], v[86:87], v[0:1]
	v_add_f64 v[2:3], v[88:89], v[2:3]
	;; [unrolled: 1-line block ×3, first 2 shown]
	v_add_f64 v[88:89], v[44:45], -v[28:29]
	v_mul_f64 v[152:153], v[104:105], s[40:41]
	v_add_f64 v[0:1], v[90:91], v[0:1]
	v_add_f64 v[2:3], v[92:93], v[2:3]
	;; [unrolled: 1-line block ×3, first 2 shown]
	v_add_f64 v[92:93], v[48:49], -v[36:37]
	v_mul_f64 v[146:147], v[88:89], s[22:23]
	v_fma_f64 v[98:99], v[86:87], s[28:29], v[140:141]
	v_add_f64 v[0:1], v[94:95], v[0:1]
	v_add_f64 v[2:3], v[96:97], v[2:3]
	;; [unrolled: 1-line block ×3, first 2 shown]
	v_add_f64 v[94:95], v[40:41], -v[32:33]
	v_mul_f64 v[150:151], v[92:93], s[30:31]
	v_fma_f64 v[169:170], v[90:91], s[26:27], v[144:145]
	v_fma_f64 v[171:172], v[124:125], s[26:27], -v[146:147]
	v_add_f64 v[0:1], v[98:99], v[0:1]
	v_add_f64 v[2:3], v[108:109], v[2:3]
	;; [unrolled: 1-line block ×4, first 2 shown]
	v_mul_f64 v[154:155], v[94:95], s[40:41]
	v_fma_f64 v[173:174], v[96:97], s[34:35], v[148:149]
	v_fma_f64 v[175:176], v[126:127], s[34:35], -v[150:151]
	v_add_f64 v[0:1], v[169:170], v[0:1]
	v_add_f64 v[2:3], v[171:172], v[2:3]
	v_fma_f64 v[169:170], v[98:99], s[38:39], v[152:153]
	v_fma_f64 v[171:172], v[108:109], s[38:39], -v[154:155]
	v_add_f64 v[0:1], v[173:174], v[0:1]
	v_add_f64 v[2:3], v[175:176], v[2:3]
	;; [unrolled: 1-line block ×4, first 2 shown]
	s_and_saveexec_b32 s33, vcc_lo
	s_cbranch_execz .LBB0_7
; %bb.6:
	v_add_f64 v[0:1], v[6:7], v[70:71]
	v_add_f64 v[2:3], v[4:5], v[68:69]
	s_mov_b32 s43, 0x3fc7851a
	s_mov_b32 s42, s40
	;; [unrolled: 1-line block ×16, first 2 shown]
	v_mul_f64 v[173:174], v[100:101], s[24:25]
	v_mul_f64 v[175:176], v[108:109], s[20:21]
	v_add_f64 v[0:1], v[66:67], v[0:1]
	v_add_f64 v[2:3], v[64:65], v[2:3]
	v_mul_f64 v[66:67], v[156:157], s[6:7]
	v_add_f64 v[0:1], v[62:63], v[0:1]
	v_add_f64 v[2:3], v[60:61], v[2:3]
	v_add_f64 v[66:67], v[66:67], -v[160:161]
	v_add_f64 v[0:1], v[58:59], v[0:1]
	v_add_f64 v[2:3], v[56:57], v[2:3]
	v_add_f64 v[0:1], v[54:55], v[0:1]
	v_add_f64 v[2:3], v[52:53], v[2:3]
	v_add_f64 v[0:1], v[46:47], v[0:1]
	v_add_f64 v[2:3], v[44:45], v[2:3]
	v_mul_f64 v[44:45], v[158:159], s[24:25]
	v_mul_f64 v[46:47], v[158:159], s[36:37]
	v_add_f64 v[0:1], v[50:51], v[0:1]
	v_add_f64 v[2:3], v[48:49], v[2:3]
	v_mul_f64 v[48:49], v[158:159], s[16:17]
	v_mul_f64 v[50:51], v[158:159], s[8:9]
	v_fma_f64 v[58:59], v[156:157], s[28:29], v[44:45]
	v_fma_f64 v[44:45], v[156:157], s[28:29], -v[44:45]
	v_fma_f64 v[60:61], v[156:157], s[20:21], v[46:47]
	v_fma_f64 v[46:47], v[156:157], s[20:21], -v[46:47]
	v_add_f64 v[0:1], v[42:43], v[0:1]
	v_add_f64 v[2:3], v[40:41], v[2:3]
	v_mul_f64 v[40:41], v[158:159], s[30:31]
	v_mul_f64 v[42:43], v[158:159], s[22:23]
	v_fma_f64 v[62:63], v[156:157], s[18:19], v[48:49]
	v_fma_f64 v[48:49], v[156:157], s[18:19], -v[48:49]
	v_fma_f64 v[64:65], v[156:157], s[10:11], v[50:51]
	v_fma_f64 v[50:51], v[156:157], s[10:11], -v[50:51]
	v_add_f64 v[58:59], v[4:5], v[58:59]
	v_add_f64 v[44:45], v[4:5], v[44:45]
	;; [unrolled: 1-line block ×6, first 2 shown]
	v_mul_f64 v[32:33], v[164:165], s[10:11]
	v_fma_f64 v[54:55], v[156:157], s[34:35], v[40:41]
	v_fma_f64 v[40:41], v[156:157], s[34:35], -v[40:41]
	v_fma_f64 v[56:57], v[156:157], s[26:27], v[42:43]
	v_fma_f64 v[42:43], v[156:157], s[26:27], -v[42:43]
	v_add_f64 v[62:63], v[4:5], v[62:63]
	v_add_f64 v[48:49], v[4:5], v[48:49]
	;; [unrolled: 1-line block ×4, first 2 shown]
	v_mul_f64 v[38:39], v[158:159], s[40:41]
	v_fma_f64 v[34:35], v[162:163], s[48:49], v[32:33]
	v_mul_f64 v[36:37], v[164:165], s[6:7]
	v_fma_f64 v[32:33], v[162:163], s[8:9], v[32:33]
	v_add_f64 v[54:55], v[4:5], v[54:55]
	v_add_f64 v[40:41], v[4:5], v[40:41]
	;; [unrolled: 1-line block ×6, first 2 shown]
	v_mul_f64 v[28:29], v[164:165], s[18:19]
	v_fma_f64 v[52:53], v[156:157], s[38:39], v[38:39]
	v_fma_f64 v[38:39], v[156:157], s[38:39], -v[38:39]
	v_add_f64 v[36:37], v[166:167], v[36:37]
	v_add_f64 v[32:33], v[6:7], v[32:33]
	;; [unrolled: 1-line block ×4, first 2 shown]
	v_mul_f64 v[24:25], v[164:165], s[20:21]
	v_fma_f64 v[30:31], v[162:163], s[50:51], v[28:29]
	v_fma_f64 v[28:29], v[162:163], s[16:17], v[28:29]
	v_add_f64 v[52:53], v[4:5], v[52:53]
	v_add_f64 v[38:39], v[4:5], v[38:39]
	;; [unrolled: 1-line block ×5, first 2 shown]
	v_fma_f64 v[26:27], v[162:163], s[36:37], v[24:25]
	v_fma_f64 v[24:25], v[162:163], s[52:53], v[24:25]
	v_add_f64 v[169:170], v[6:7], v[30:31]
	v_add_f64 v[171:172], v[6:7], v[28:29]
	v_mul_f64 v[28:29], v[120:121], s[26:27]
	v_mul_f64 v[30:31], v[118:119], s[22:23]
	v_add_f64 v[0:1], v[18:19], v[0:1]
	v_add_f64 v[2:3], v[16:17], v[2:3]
	v_mul_f64 v[16:17], v[164:165], s[26:27]
	v_mul_f64 v[18:19], v[164:165], s[28:29]
	v_add_f64 v[166:167], v[6:7], v[24:25]
	v_add_f64 v[24:25], v[4:5], v[64:65]
	v_mul_f64 v[64:65], v[122:123], s[50:51]
	v_add_f64 v[0:1], v[14:15], v[0:1]
	v_add_f64 v[2:3], v[12:13], v[2:3]
	v_mul_f64 v[12:13], v[164:165], s[38:39]
	v_mul_f64 v[14:15], v[164:165], s[34:35]
	v_fma_f64 v[20:21], v[162:163], s[46:47], v[16:17]
	v_fma_f64 v[16:17], v[162:163], s[22:23], v[16:17]
	;; [unrolled: 1-line block ×4, first 2 shown]
	v_add_f64 v[164:165], v[6:7], v[26:27]
	v_add_f64 v[26:27], v[6:7], v[34:35]
	;; [unrolled: 1-line block ×4, first 2 shown]
	v_mul_f64 v[66:67], v[126:127], s[28:29]
	v_add_f64 v[10:11], v[10:11], v[0:1]
	v_add_f64 v[8:9], v[8:9], v[2:3]
	v_fma_f64 v[0:1], v[162:163], s[42:43], v[12:13]
	v_fma_f64 v[2:3], v[162:163], s[40:41], v[12:13]
	;; [unrolled: 1-line block ×4, first 2 shown]
	v_add_f64 v[158:159], v[6:7], v[16:17]
	v_mul_f64 v[16:17], v[112:113], s[34:35]
	v_add_f64 v[156:157], v[6:7], v[20:21]
	v_add_f64 v[160:161], v[6:7], v[22:23]
	;; [unrolled: 1-line block ×3, first 2 shown]
	v_mul_f64 v[18:19], v[110:111], s[30:31]
	v_mul_f64 v[20:21], v[116:117], s[10:11]
	;; [unrolled: 1-line block ×3, first 2 shown]
	v_add_f64 v[0:1], v[6:7], v[0:1]
	v_add_f64 v[2:3], v[6:7], v[2:3]
	;; [unrolled: 1-line block ×3, first 2 shown]
	v_mul_f64 v[12:13], v[106:107], s[6:7]
	v_add_f64 v[70:71], v[6:7], v[14:15]
	v_mul_f64 v[14:15], v[102:103], s[54:55]
	v_fma_f64 v[6:7], v[76:77], s[44:45], v[16:17]
	v_fma_f64 v[4:5], v[72:73], s[4:5], v[12:13]
	;; [unrolled: 1-line block ×3, first 2 shown]
	v_add_f64 v[0:1], v[4:5], v[0:1]
	v_fma_f64 v[4:5], v[74:75], s[6:7], v[14:15]
	v_add_f64 v[2:3], v[12:13], v[2:3]
	v_fma_f64 v[12:13], v[74:75], s[6:7], -v[14:15]
	v_fma_f64 v[14:15], v[76:77], s[30:31], v[16:17]
	v_add_f64 v[0:1], v[6:7], v[0:1]
	v_add_f64 v[4:5], v[4:5], v[52:53]
	v_fma_f64 v[6:7], v[78:79], s[34:35], v[18:19]
	v_add_f64 v[12:13], v[12:13], v[38:39]
	v_add_f64 v[2:3], v[14:15], v[2:3]
	v_fma_f64 v[14:15], v[78:79], s[34:35], -v[18:19]
	v_mul_f64 v[52:53], v[124:125], s[18:19]
	v_mul_f64 v[38:39], v[114:115], s[46:47]
	v_add_f64 v[4:5], v[6:7], v[4:5]
	v_fma_f64 v[6:7], v[80:81], s[8:9], v[20:21]
	v_add_f64 v[12:13], v[14:15], v[12:13]
	v_fma_f64 v[14:15], v[80:81], s[48:49], v[20:21]
	v_mul_f64 v[20:21], v[102:103], s[50:51]
	v_add_f64 v[0:1], v[6:7], v[0:1]
	v_fma_f64 v[6:7], v[82:83], s[10:11], v[22:23]
	v_add_f64 v[2:3], v[14:15], v[2:3]
	v_fma_f64 v[14:15], v[82:83], s[10:11], -v[22:23]
	v_mul_f64 v[22:23], v[112:113], s[20:21]
	v_fma_f64 v[16:17], v[74:75], s[18:19], v[20:21]
	v_fma_f64 v[20:21], v[74:75], s[18:19], -v[20:21]
	v_add_f64 v[4:5], v[6:7], v[4:5]
	v_fma_f64 v[6:7], v[84:85], s[46:47], v[28:29]
	v_add_f64 v[12:13], v[14:15], v[12:13]
	v_fma_f64 v[14:15], v[84:85], s[22:23], v[28:29]
	v_fma_f64 v[18:19], v[76:77], s[52:53], v[22:23]
	v_mul_f64 v[28:29], v[110:111], s[36:37]
	v_add_f64 v[16:17], v[16:17], v[54:55]
	v_fma_f64 v[22:23], v[76:77], s[36:37], v[22:23]
	v_add_f64 v[20:21], v[20:21], v[40:41]
	v_mul_f64 v[54:55], v[118:119], s[4:5]
	v_mul_f64 v[40:41], v[112:113], s[6:7]
	v_add_f64 v[0:1], v[6:7], v[0:1]
	v_fma_f64 v[6:7], v[86:87], s[26:27], v[30:31]
	v_add_f64 v[2:3], v[14:15], v[2:3]
	v_fma_f64 v[14:15], v[86:87], s[26:27], -v[30:31]
	v_mul_f64 v[30:31], v[116:117], s[26:27]
	v_add_f64 v[4:5], v[6:7], v[4:5]
	v_fma_f64 v[6:7], v[88:89], s[16:17], v[52:53]
	v_add_f64 v[12:13], v[14:15], v[12:13]
	v_fma_f64 v[14:15], v[88:89], s[50:51], v[52:53]
	v_mul_f64 v[52:53], v[120:121], s[6:7]
	v_add_f64 v[0:1], v[6:7], v[0:1]
	v_fma_f64 v[6:7], v[90:91], s[18:19], v[64:65]
	v_add_f64 v[2:3], v[14:15], v[2:3]
	v_fma_f64 v[14:15], v[90:91], s[18:19], -v[64:65]
	v_mul_f64 v[64:65], v[124:125], s[38:39]
	v_add_f64 v[4:5], v[6:7], v[4:5]
	v_fma_f64 v[6:7], v[92:93], s[56:57], v[66:67]
	v_add_f64 v[12:13], v[14:15], v[12:13]
	v_fma_f64 v[14:15], v[92:93], s[24:25], v[66:67]
	;; [unrolled: 10-line block ×3, first 2 shown]
	v_mul_f64 v[175:176], v[108:109], s[28:29]
	v_add_f64 v[6:7], v[6:7], v[0:1]
	v_mul_f64 v[0:1], v[104:105], s[52:53]
	v_add_f64 v[14:15], v[14:15], v[2:3]
	v_fma_f64 v[177:178], v[98:99], s[20:21], v[0:1]
	v_fma_f64 v[0:1], v[98:99], s[20:21], -v[0:1]
	v_add_f64 v[4:5], v[177:178], v[4:5]
	v_add_f64 v[12:13], v[0:1], v[12:13]
	v_mul_f64 v[0:1], v[106:107], s[18:19]
	v_fma_f64 v[2:3], v[72:73], s[16:17], v[0:1]
	v_fma_f64 v[0:1], v[72:73], s[50:51], v[0:1]
	v_add_f64 v[2:3], v[2:3], v[68:69]
	v_add_f64 v[0:1], v[0:1], v[70:71]
	v_mul_f64 v[68:69], v[126:127], s[10:11]
	v_mul_f64 v[70:71], v[122:123], s[8:9]
	v_add_f64 v[2:3], v[18:19], v[2:3]
	v_fma_f64 v[18:19], v[78:79], s[20:21], v[28:29]
	v_add_f64 v[0:1], v[22:23], v[0:1]
	v_fma_f64 v[22:23], v[78:79], s[20:21], -v[28:29]
	v_add_f64 v[16:17], v[18:19], v[16:17]
	v_fma_f64 v[18:19], v[80:81], s[22:23], v[30:31]
	v_add_f64 v[20:21], v[22:23], v[20:21]
	v_fma_f64 v[22:23], v[80:81], s[46:47], v[30:31]
	v_fma_f64 v[30:31], v[76:77], s[54:55], v[40:41]
	;; [unrolled: 1-line block ×3, first 2 shown]
	v_add_f64 v[2:3], v[18:19], v[2:3]
	v_fma_f64 v[18:19], v[82:83], s[26:27], v[38:39]
	v_add_f64 v[0:1], v[22:23], v[0:1]
	v_fma_f64 v[22:23], v[82:83], s[26:27], -v[38:39]
	v_mul_f64 v[38:39], v[102:103], s[56:57]
	v_add_f64 v[16:17], v[18:19], v[16:17]
	v_fma_f64 v[18:19], v[84:85], s[54:55], v[52:53]
	v_add_f64 v[20:21], v[22:23], v[20:21]
	v_fma_f64 v[22:23], v[84:85], s[4:5], v[52:53]
	v_fma_f64 v[28:29], v[74:75], s[28:29], v[38:39]
	v_mul_f64 v[52:53], v[110:111], s[4:5]
	v_fma_f64 v[38:39], v[74:75], s[28:29], -v[38:39]
	v_add_f64 v[2:3], v[18:19], v[2:3]
	v_fma_f64 v[18:19], v[86:87], s[6:7], v[54:55]
	v_add_f64 v[0:1], v[22:23], v[0:1]
	v_fma_f64 v[22:23], v[86:87], s[6:7], -v[54:55]
	v_mul_f64 v[54:55], v[116:117], s[34:35]
	v_add_f64 v[38:39], v[38:39], v[42:43]
	v_add_f64 v[28:29], v[28:29], v[56:57]
	v_mul_f64 v[56:57], v[114:115], s[30:31]
	v_mul_f64 v[42:43], v[74:75], s[10:11]
	v_add_f64 v[16:17], v[18:19], v[16:17]
	v_fma_f64 v[18:19], v[88:89], s[42:43], v[64:65]
	v_add_f64 v[20:21], v[22:23], v[20:21]
	v_fma_f64 v[22:23], v[88:89], s[40:41], v[64:65]
	v_mul_f64 v[64:65], v[120:121], s[20:21]
	v_add_f64 v[42:43], v[42:43], -v[128:129]
	v_add_f64 v[2:3], v[18:19], v[2:3]
	v_fma_f64 v[18:19], v[90:91], s[38:39], v[66:67]
	v_add_f64 v[0:1], v[22:23], v[0:1]
	v_fma_f64 v[22:23], v[90:91], s[38:39], -v[66:67]
	v_mul_f64 v[66:67], v[118:119], s[52:53]
	v_add_f64 v[42:43], v[42:43], v[50:51]
	v_mul_f64 v[50:51], v[116:117], s[20:21]
	v_add_f64 v[16:17], v[18:19], v[16:17]
	v_fma_f64 v[18:19], v[92:93], s[8:9], v[68:69]
	v_add_f64 v[20:21], v[22:23], v[20:21]
	v_fma_f64 v[22:23], v[92:93], s[48:49], v[68:69]
	v_mul_f64 v[68:69], v[124:125], s[10:11]
	v_add_f64 v[50:51], v[138:139], v[50:51]
	v_add_f64 v[2:3], v[18:19], v[2:3]
	v_fma_f64 v[18:19], v[96:97], s[10:11], v[173:174]
	v_add_f64 v[0:1], v[22:23], v[0:1]
	v_fma_f64 v[22:23], v[96:97], s[10:11], -v[173:174]
	v_mul_f64 v[173:174], v[100:101], s[40:41]
	v_add_f64 v[16:17], v[18:19], v[16:17]
	v_fma_f64 v[18:19], v[94:95], s[56:57], v[175:176]
	v_add_f64 v[20:21], v[22:23], v[20:21]
	v_fma_f64 v[22:23], v[94:95], s[24:25], v[175:176]
	v_mul_f64 v[175:176], v[108:109], s[18:19]
	v_add_f64 v[18:19], v[18:19], v[2:3]
	v_mul_f64 v[2:3], v[104:105], s[24:25]
	v_add_f64 v[22:23], v[22:23], v[0:1]
	v_mul_f64 v[0:1], v[106:107], s[28:29]
	v_fma_f64 v[177:178], v[98:99], s[28:29], v[2:3]
	v_fma_f64 v[2:3], v[98:99], s[28:29], -v[2:3]
	v_add_f64 v[16:17], v[177:178], v[16:17]
	v_add_f64 v[20:21], v[2:3], v[20:21]
	v_fma_f64 v[2:3], v[72:73], s[24:25], v[0:1]
	v_fma_f64 v[0:1], v[72:73], s[56:57], v[0:1]
	v_add_f64 v[2:3], v[2:3], v[156:157]
	v_add_f64 v[0:1], v[0:1], v[158:159]
	v_mul_f64 v[156:157], v[126:127], s[38:39]
	v_add_f64 v[2:3], v[30:31], v[2:3]
	v_add_f64 v[0:1], v[40:41], v[0:1]
	v_fma_f64 v[40:41], v[78:79], s[6:7], -v[52:53]
	v_fma_f64 v[30:31], v[78:79], s[6:7], v[52:53]
	v_mul_f64 v[52:53], v[112:113], s[18:19]
	v_add_f64 v[38:39], v[40:41], v[38:39]
	v_fma_f64 v[40:41], v[80:81], s[30:31], v[54:55]
	v_add_f64 v[52:53], v[134:135], v[52:53]
	v_add_f64 v[28:29], v[30:31], v[28:29]
	v_fma_f64 v[30:31], v[80:81], s[44:45], v[54:55]
	v_add_f64 v[0:1], v[40:41], v[0:1]
	v_fma_f64 v[40:41], v[82:83], s[34:35], -v[56:57]
	v_add_f64 v[2:3], v[30:31], v[2:3]
	v_fma_f64 v[30:31], v[82:83], s[34:35], v[56:57]
	v_add_f64 v[38:39], v[40:41], v[38:39]
	v_fma_f64 v[40:41], v[84:85], s[52:53], v[64:65]
	v_add_f64 v[28:29], v[30:31], v[28:29]
	v_fma_f64 v[30:31], v[84:85], s[36:37], v[64:65]
	v_add_f64 v[0:1], v[40:41], v[0:1]
	v_fma_f64 v[40:41], v[86:87], s[20:21], -v[66:67]
	v_add_f64 v[2:3], v[30:31], v[2:3]
	v_fma_f64 v[30:31], v[86:87], s[20:21], v[66:67]
	v_add_f64 v[38:39], v[40:41], v[38:39]
	v_fma_f64 v[40:41], v[88:89], s[8:9], v[68:69]
	;; [unrolled: 8-line block ×3, first 2 shown]
	v_add_f64 v[28:29], v[30:31], v[28:29]
	v_fma_f64 v[30:31], v[92:93], s[42:43], v[156:157]
	v_add_f64 v[0:1], v[40:41], v[0:1]
	v_fma_f64 v[40:41], v[96:97], s[38:39], -v[173:174]
	v_add_f64 v[2:3], v[30:31], v[2:3]
	v_fma_f64 v[30:31], v[96:97], s[38:39], v[173:174]
	v_add_f64 v[38:39], v[40:41], v[38:39]
	v_mul_f64 v[40:41], v[106:107], s[10:11]
	v_add_f64 v[28:29], v[30:31], v[28:29]
	v_fma_f64 v[30:31], v[94:95], s[16:17], v[175:176]
	v_add_f64 v[40:41], v[130:131], v[40:41]
	v_add_f64 v[30:31], v[30:31], v[2:3]
	v_mul_f64 v[2:3], v[104:105], s[50:51]
	v_add_f64 v[36:37], v[40:41], v[36:37]
	v_mul_f64 v[40:41], v[78:79], s[18:19]
	v_fma_f64 v[177:178], v[98:99], s[18:19], v[2:3]
	v_fma_f64 v[2:3], v[98:99], s[18:19], -v[2:3]
	v_add_f64 v[36:37], v[52:53], v[36:37]
	v_add_f64 v[40:41], v[40:41], -v[132:133]
	v_mul_f64 v[52:53], v[82:83], s[20:21]
	v_add_f64 v[28:29], v[177:178], v[28:29]
	v_add_f64 v[36:37], v[50:51], v[36:37]
	;; [unrolled: 1-line block ×3, first 2 shown]
	v_add_f64 v[52:53], v[52:53], -v[136:137]
	v_mul_f64 v[42:43], v[120:121], s[28:29]
	v_mul_f64 v[50:51], v[86:87], s[28:29]
	v_add_f64 v[40:41], v[52:53], v[40:41]
	v_add_f64 v[42:43], v[142:143], v[42:43]
	v_mul_f64 v[52:53], v[124:125], s[26:27]
	v_add_f64 v[50:51], v[50:51], -v[140:141]
	v_mul_f64 v[142:143], v[102:103], s[22:23]
	v_add_f64 v[36:37], v[42:43], v[36:37]
	v_add_f64 v[52:53], v[146:147], v[52:53]
	v_mul_f64 v[42:43], v[90:91], s[26:27]
	v_add_f64 v[40:41], v[50:51], v[40:41]
	v_mul_f64 v[50:51], v[126:127], s[34:35]
	v_add_f64 v[36:37], v[52:53], v[36:37]
	v_add_f64 v[42:43], v[42:43], -v[144:145]
	v_mul_f64 v[52:53], v[96:97], s[34:35]
	v_fma_f64 v[144:145], v[74:75], s[26:27], -v[142:143]
	v_add_f64 v[50:51], v[150:151], v[50:51]
	v_add_f64 v[40:41], v[42:43], v[40:41]
	v_add_f64 v[52:53], v[52:53], -v[148:149]
	v_add_f64 v[48:49], v[144:145], v[48:49]
	v_mul_f64 v[144:145], v[112:113], s[38:39]
	v_add_f64 v[36:37], v[50:51], v[36:37]
	v_mul_f64 v[50:51], v[98:99], s[38:39]
	v_mul_f64 v[42:43], v[108:109], s[38:39]
	v_add_f64 v[40:41], v[52:53], v[40:41]
	v_mul_f64 v[52:53], v[106:107], s[20:21]
	v_fma_f64 v[146:147], v[76:77], s[42:43], v[144:145]
	v_add_f64 v[50:51], v[50:51], -v[152:153]
	v_add_f64 v[42:43], v[154:155], v[42:43]
	v_fma_f64 v[54:55], v[72:73], s[36:37], v[52:53]
	v_fma_f64 v[52:53], v[72:73], s[52:53], v[52:53]
	v_add_f64 v[32:33], v[54:55], v[32:33]
	v_mul_f64 v[54:55], v[102:103], s[36:37]
	v_add_f64 v[26:27], v[52:53], v[26:27]
	v_fma_f64 v[56:57], v[74:75], s[20:21], -v[54:55]
	v_fma_f64 v[54:55], v[74:75], s[20:21], v[54:55]
	v_add_f64 v[34:35], v[56:57], v[34:35]
	v_mul_f64 v[56:57], v[112:113], s[26:27]
	v_add_f64 v[24:25], v[54:55], v[24:25]
	v_fma_f64 v[64:65], v[76:77], s[22:23], v[56:57]
	v_fma_f64 v[56:57], v[76:77], s[46:47], v[56:57]
	v_add_f64 v[32:33], v[64:65], v[32:33]
	v_mul_f64 v[64:65], v[110:111], s[22:23]
	v_add_f64 v[26:27], v[56:57], v[26:27]
	v_fma_f64 v[66:67], v[78:79], s[26:27], -v[64:65]
	v_fma_f64 v[52:53], v[78:79], s[26:27], v[64:65]
	v_add_f64 v[34:35], v[66:67], v[34:35]
	v_mul_f64 v[66:67], v[116:117], s[38:39]
	v_add_f64 v[24:25], v[52:53], v[24:25]
	v_fma_f64 v[68:69], v[80:81], s[40:41], v[66:67]
	v_add_f64 v[32:33], v[68:69], v[32:33]
	v_mul_f64 v[68:69], v[114:115], s[40:41]
	v_fma_f64 v[70:71], v[82:83], s[38:39], -v[68:69]
	v_fma_f64 v[56:57], v[82:83], s[38:39], v[68:69]
	v_add_f64 v[34:35], v[70:71], v[34:35]
	v_mul_f64 v[70:71], v[120:121], s[34:35]
	v_add_f64 v[24:25], v[56:57], v[24:25]
	v_fma_f64 v[128:129], v[84:85], s[44:45], v[70:71]
	v_add_f64 v[32:33], v[128:129], v[32:33]
	v_mul_f64 v[128:129], v[118:119], s[44:45]
	v_fma_f64 v[130:131], v[86:87], s[34:35], -v[128:129]
	v_add_f64 v[34:35], v[130:131], v[34:35]
	v_mul_f64 v[130:131], v[124:125], s[28:29]
	v_fma_f64 v[132:133], v[88:89], s[56:57], v[130:131]
	v_add_f64 v[32:33], v[132:133], v[32:33]
	v_mul_f64 v[132:133], v[122:123], s[56:57]
	v_fma_f64 v[134:135], v[90:91], s[28:29], -v[132:133]
	v_add_f64 v[34:35], v[134:135], v[34:35]
	v_mul_f64 v[134:135], v[126:127], s[18:19]
	v_fma_f64 v[136:137], v[92:93], s[50:51], v[134:135]
	v_add_f64 v[136:137], v[136:137], v[32:33]
	v_mul_f64 v[32:33], v[100:101], s[50:51]
	v_fma_f64 v[138:139], v[96:97], s[18:19], -v[32:33]
	v_fma_f64 v[32:33], v[96:97], s[18:19], v[32:33]
	v_add_f64 v[138:139], v[138:139], v[34:35]
	v_mul_f64 v[34:35], v[106:107], s[26:27]
	v_fma_f64 v[140:141], v[72:73], s[22:23], v[34:35]
	v_fma_f64 v[34:35], v[72:73], s[46:47], v[34:35]
	v_add_f64 v[140:141], v[140:141], v[171:172]
	v_add_f64 v[34:35], v[34:35], v[169:170]
	;; [unrolled: 1-line block ×3, first 2 shown]
	v_mul_f64 v[146:147], v[110:111], s[42:43]
	v_fma_f64 v[148:149], v[78:79], s[38:39], -v[146:147]
	v_add_f64 v[48:49], v[148:149], v[48:49]
	v_mul_f64 v[148:149], v[116:117], s[28:29]
	v_fma_f64 v[150:151], v[80:81], s[56:57], v[148:149]
	v_add_f64 v[140:141], v[150:151], v[140:141]
	v_mul_f64 v[150:151], v[114:115], s[56:57]
	v_fma_f64 v[152:153], v[82:83], s[28:29], -v[150:151]
	v_fma_f64 v[54:55], v[82:83], s[28:29], v[150:151]
	v_add_f64 v[48:49], v[152:153], v[48:49]
	v_mul_f64 v[152:153], v[120:121], s[10:11]
	v_fma_f64 v[154:155], v[84:85], s[48:49], v[152:153]
	v_add_f64 v[140:141], v[154:155], v[140:141]
	v_mul_f64 v[154:155], v[118:119], s[48:49]
	v_fma_f64 v[156:157], v[86:87], s[10:11], -v[154:155]
	v_fma_f64 v[52:53], v[86:87], s[10:11], v[154:155]
	v_add_f64 v[48:49], v[156:157], v[48:49]
	v_mul_f64 v[156:157], v[124:125], s[6:7]
	v_fma_f64 v[158:159], v[88:89], s[4:5], v[156:157]
	v_fma_f64 v[64:65], v[88:89], s[54:55], v[156:157]
	v_add_f64 v[140:141], v[158:159], v[140:141]
	v_mul_f64 v[158:159], v[122:123], s[4:5]
	v_fma_f64 v[171:172], v[90:91], s[6:7], -v[158:159]
	v_fma_f64 v[68:69], v[90:91], s[6:7], v[158:159]
	v_add_f64 v[48:49], v[171:172], v[48:49]
	v_mul_f64 v[171:172], v[126:127], s[20:21]
	v_fma_f64 v[173:174], v[92:93], s[36:37], v[171:172]
	v_add_f64 v[140:141], v[173:174], v[140:141]
	v_mul_f64 v[173:174], v[100:101], s[36:37]
	v_fma_f64 v[177:178], v[96:97], s[20:21], -v[173:174]
	v_add_f64 v[48:49], v[177:178], v[48:49]
	v_mul_f64 v[177:178], v[106:107], s[38:39]
	v_fma_f64 v[179:180], v[72:73], s[40:41], v[177:178]
	v_add_f64 v[164:165], v[179:180], v[164:165]
	v_mul_f64 v[179:180], v[112:113], s[28:29]
	v_mul_f64 v[112:113], v[112:113], s[10:11]
	v_fma_f64 v[181:182], v[76:77], s[56:57], v[179:180]
	v_add_f64 v[164:165], v[181:182], v[164:165]
	v_mul_f64 v[181:182], v[102:103], s[40:41]
	v_mul_f64 v[102:103], v[102:103], s[44:45]
	v_fma_f64 v[183:184], v[74:75], s[38:39], -v[181:182]
	v_add_f64 v[46:47], v[183:184], v[46:47]
	v_mul_f64 v[183:184], v[116:117], s[6:7]
	v_mul_f64 v[116:117], v[116:117], s[18:19]
	v_fma_f64 v[185:186], v[80:81], s[54:55], v[183:184]
	v_add_f64 v[164:165], v[185:186], v[164:165]
	v_mul_f64 v[185:186], v[110:111], s[56:57]
	v_mul_f64 v[110:111], v[110:111], s[48:49]
	v_fma_f64 v[189:190], v[78:79], s[28:29], -v[185:186]
	;; [unrolled: 8-line block ×5, first 2 shown]
	v_fma_f64 v[56:57], v[90:91], s[34:35], v[200:201]
	v_add_f64 v[46:47], v[202:203], v[46:47]
	v_mul_f64 v[202:203], v[100:101], s[46:47]
	v_fma_f64 v[204:205], v[96:97], s[26:27], -v[202:203]
	v_add_f64 v[204:205], v[204:205], v[46:47]
	v_mul_f64 v[46:47], v[106:107], s[34:35]
	v_fma_f64 v[106:107], v[72:73], s[44:45], v[46:47]
	v_fma_f64 v[46:47], v[72:73], s[30:31], v[46:47]
	v_add_f64 v[106:107], v[106:107], v[162:163]
	v_fma_f64 v[162:163], v[74:75], s[34:35], -v[102:103]
	v_add_f64 v[46:47], v[46:47], v[160:161]
	v_fma_f64 v[102:103], v[74:75], s[34:35], v[102:103]
	v_add_f64 v[44:45], v[162:163], v[44:45]
	v_fma_f64 v[162:163], v[76:77], s[48:49], v[112:113]
	v_fma_f64 v[112:113], v[76:77], s[8:9], v[112:113]
	v_add_f64 v[58:59], v[102:103], v[58:59]
	v_fma_f64 v[102:103], v[88:89], s[36:37], v[124:125]
	v_add_f64 v[106:107], v[162:163], v[106:107]
	v_add_f64 v[46:47], v[112:113], v[46:47]
	v_fma_f64 v[112:113], v[80:81], s[50:51], v[116:117]
	v_fma_f64 v[162:163], v[78:79], s[10:11], -v[110:111]
	v_add_f64 v[46:47], v[112:113], v[46:47]
	v_fma_f64 v[112:113], v[84:85], s[42:43], v[120:121]
	v_add_f64 v[44:45], v[162:163], v[44:45]
	v_fma_f64 v[162:163], v[80:81], s[16:17], v[116:117]
	v_add_f64 v[46:47], v[112:113], v[46:47]
	v_add_f64 v[106:107], v[162:163], v[106:107]
	v_fma_f64 v[162:163], v[82:83], s[18:19], -v[114:115]
	v_add_f64 v[46:47], v[102:103], v[46:47]
	v_fma_f64 v[102:103], v[78:79], s[10:11], v[110:111]
	v_fma_f64 v[110:111], v[74:75], s[38:39], v[181:182]
	v_add_f64 v[44:45], v[162:163], v[44:45]
	v_fma_f64 v[162:163], v[84:85], s[40:41], v[120:121]
	v_add_f64 v[58:59], v[102:103], v[58:59]
	;; [unrolled: 2-line block ×4, first 2 shown]
	v_fma_f64 v[162:163], v[86:87], s[38:39], -v[118:119]
	v_add_f64 v[58:59], v[102:103], v[58:59]
	v_fma_f64 v[102:103], v[86:87], s[38:39], v[118:119]
	v_add_f64 v[44:45], v[162:163], v[44:45]
	v_fma_f64 v[162:163], v[88:89], s[52:53], v[124:125]
	;; [unrolled: 2-line block ×3, first 2 shown]
	v_add_f64 v[106:107], v[162:163], v[106:107]
	v_fma_f64 v[162:163], v[90:91], s[20:21], -v[122:123]
	v_add_f64 v[58:59], v[102:103], v[58:59]
	v_fma_f64 v[102:103], v[72:73], s[42:43], v[177:178]
	v_fma_f64 v[72:73], v[78:79], s[38:39], v[146:147]
	v_add_f64 v[44:45], v[162:163], v[44:45]
	v_fma_f64 v[162:163], v[92:93], s[4:5], v[126:127]
	v_add_f64 v[102:103], v[102:103], v[166:167]
	v_add_f64 v[106:107], v[162:163], v[106:107]
	;; [unrolled: 1-line block ×3, first 2 shown]
	v_fma_f64 v[110:111], v[78:79], s[28:29], v[185:186]
	v_fma_f64 v[78:79], v[92:93], s[54:55], v[126:127]
	v_add_f64 v[60:61], v[110:111], v[60:61]
	v_fma_f64 v[110:111], v[80:81], s[4:5], v[183:184]
	v_add_f64 v[78:79], v[78:79], v[46:47]
	v_add_f64 v[102:103], v[110:111], v[102:103]
	v_fma_f64 v[110:111], v[82:83], s[6:7], v[191:192]
	v_fma_f64 v[82:83], v[92:93], s[22:23], v[198:199]
	v_add_f64 v[60:61], v[110:111], v[60:61]
	v_fma_f64 v[110:111], v[84:85], s[50:51], v[189:190]
	v_add_f64 v[102:103], v[110:111], v[102:103]
	;; [unrolled: 2-line block ×4, first 2 shown]
	v_add_f64 v[102:103], v[110:111], v[102:103]
	v_fma_f64 v[110:111], v[76:77], s[40:41], v[144:145]
	v_mul_f64 v[60:61], v[108:109], s[6:7]
	v_mul_f64 v[76:77], v[104:105], s[30:31]
	v_add_f64 v[82:83], v[82:83], v[102:103]
	v_add_f64 v[34:35], v[110:111], v[34:35]
	v_fma_f64 v[110:111], v[80:81], s[24:25], v[148:149]
	v_add_f64 v[34:35], v[110:111], v[34:35]
	v_fma_f64 v[110:111], v[84:85], s[8:9], v[152:153]
	;; [unrolled: 2-line block ×3, first 2 shown]
	v_fma_f64 v[74:75], v[90:91], s[28:29], v[132:133]
	v_fma_f64 v[90:91], v[92:93], s[52:53], v[171:172]
	v_fma_f64 v[92:93], v[92:93], s[16:17], v[134:135]
	v_add_f64 v[34:35], v[64:65], v[34:35]
	v_add_f64 v[62:63], v[110:111], v[62:63]
	;; [unrolled: 1-line block ×3, first 2 shown]
	v_mul_f64 v[72:73], v[104:105], s[54:55]
	v_add_f64 v[54:55], v[54:55], v[62:63]
	v_fma_f64 v[62:63], v[80:81], s[42:43], v[66:67]
	v_mul_f64 v[66:67], v[100:101], s[4:5]
	v_mul_f64 v[80:81], v[108:109], s[26:27]
	v_fma_f64 v[100:101], v[96:97], s[20:21], v[173:174]
	v_add_f64 v[52:53], v[52:53], v[54:55]
	v_fma_f64 v[54:55], v[84:85], s[30:31], v[70:71]
	v_add_f64 v[26:27], v[62:63], v[26:27]
	v_fma_f64 v[62:63], v[86:87], s[34:35], v[128:129]
	v_fma_f64 v[70:71], v[88:89], s[24:25], v[130:131]
	v_fma_f64 v[64:65], v[96:97], s[6:7], -v[66:67]
	v_fma_f64 v[66:67], v[96:97], s[6:7], v[66:67]
	v_mul_f64 v[84:85], v[104:105], s[22:23]
	v_fma_f64 v[88:89], v[96:97], s[26:27], v[202:203]
	v_fma_f64 v[86:87], v[94:95], s[50:51], v[175:176]
	v_add_f64 v[52:53], v[68:69], v[52:53]
	v_mul_f64 v[68:69], v[104:105], s[48:49]
	v_add_f64 v[26:27], v[54:55], v[26:27]
	v_add_f64 v[24:25], v[62:63], v[24:25]
	v_mul_f64 v[54:55], v[108:109], s[34:35]
	v_mul_f64 v[62:63], v[108:109], s[10:11]
	v_fma_f64 v[104:105], v[94:95], s[54:55], v[60:61]
	v_add_f64 v[64:65], v[64:65], v[44:45]
	v_add_f64 v[58:59], v[66:67], v[58:59]
	v_fma_f64 v[66:67], v[94:95], s[22:23], v[80:81]
	v_fma_f64 v[102:103], v[98:99], s[26:27], -v[84:85]
	v_fma_f64 v[80:81], v[94:95], s[46:47], v[80:81]
	v_fma_f64 v[84:85], v[98:99], s[26:27], v[84:85]
	v_add_f64 v[56:57], v[88:89], v[56:57]
	v_add_f64 v[88:89], v[90:91], v[34:35]
	v_add_f64 v[34:35], v[42:43], v[36:37]
	v_add_f64 v[90:91], v[100:101], v[52:53]
	v_fma_f64 v[108:109], v[98:99], s[10:11], -v[68:69]
	v_add_f64 v[26:27], v[70:71], v[26:27]
	v_add_f64 v[24:25], v[74:75], v[24:25]
	v_fma_f64 v[70:71], v[98:99], s[6:7], -v[72:73]
	v_fma_f64 v[96:97], v[94:95], s[30:31], v[54:55]
	v_fma_f64 v[74:75], v[98:99], s[34:35], -v[76:77]
	v_fma_f64 v[44:45], v[94:95], s[48:49], v[62:63]
	v_fma_f64 v[62:63], v[94:95], s[8:9], v[62:63]
	;; [unrolled: 1-line block ×7, first 2 shown]
	v_add_f64 v[54:55], v[80:81], v[78:79]
	v_add_f64 v[52:53], v[84:85], v[58:59]
	;; [unrolled: 1-line block ×15, first 2 shown]
	v_mul_lo_u16 v0, v220, 17
	v_add_f64 v[58:59], v[62:63], v[82:83]
	v_add_f64 v[56:57], v[68:69], v[56:57]
	v_add_f64 v[62:63], v[100:101], v[88:89]
	v_add_f64 v[60:61], v[76:77], v[90:91]
	v_and_b32_e32 v0, 0xffff, v0
	v_add_f64 v[66:67], v[94:95], v[92:93]
	v_add_f64 v[64:65], v[72:73], v[98:99]
	v_add_lshl_u32 v0, v168, v0, 4
	ds_write_b128 v0, v[8:11]
	ds_write_b128 v0, v[32:35] offset:16
	ds_write_b128 v0, v[36:39] offset:32
	;; [unrolled: 1-line block ×16, first 2 shown]
.LBB0_7:
	s_or_b32 exec_lo, exec_lo, s33
	v_add_nc_u16 v2, v220, 34
	v_add_nc_u16 v3, v220, 0x44
	s_load_dwordx4 s[4:7], s[0:1], 0x0
	v_add_co_u32 v1, s0, 0xffffffef, v220
	v_and_b32_e32 v0, 0xff, v2
	v_add_co_ci_u32_e64 v4, null, 0, -1, s0
	v_cmp_gt_u16_e64 s0, 17, v220
	v_and_b32_e32 v5, 0xff, v3
	v_mul_lo_u16 v0, 0xf1, v0
	v_mov_b32_e32 v6, 4
	s_waitcnt lgkmcnt(0)
	v_cndmask_b32_e64 v37, v4, 0, s0
	v_mul_lo_u16 v4, 0xf1, v5
	v_lshrrev_b16 v38, 12, v0
	v_cndmask_b32_e64 v36, v1, v220, s0
	s_barrier
	buffer_gl0_inv
	v_lshrrev_b16 v39, 12, v4
	v_mul_lo_u16 v4, v38, 17
	v_lshlrev_b64 v[0:1], 4, v[36:37]
	v_add_nc_u16 v8, v220, 0x88
	v_add_co_u32 v5, null, 0xee, v220
	v_sub_nc_u16 v37, v2, v4
	v_add_nc_u16 v4, v220, 0x66
	v_add_co_u32 v0, s0, s2, v0
	v_add_co_ci_u32_e64 v1, s0, s3, v1, s0
	v_lshlrev_b32_sdwa v2, v6, v37 dst_sel:DWORD dst_unused:UNUSED_PAD src0_sel:DWORD src1_sel:BYTE_0
	v_mul_lo_u16 v7, v39, 17
	v_mov_b32_e32 v11, 0xf0f1
	s_clause 0x1
	global_load_dwordx4 v[119:122], v[0:1], off
	global_load_dwordx4 v[32:35], v2, s[2:3]
	v_and_b32_e32 v0, 0xff, v4
	v_sub_nc_u16 v40, v3, v7
	v_add_nc_u16 v1, v220, 0xaa
	v_and_b32_e32 v2, 0xff, v8
	v_add_nc_u16 v3, v220, 0xcc
	v_mul_lo_u16 v0, 0xf1, v0
	v_lshlrev_b32_sdwa v7, v6, v40 dst_sel:DWORD dst_unused:UNUSED_PAD src0_sel:DWORD src1_sel:BYTE_0
	v_and_b32_e32 v9, 0xff, v1
	v_mul_lo_u16 v2, 0xf1, v2
	v_and_b32_e32 v10, 0xff, v3
	v_lshrrev_b16 v20, 12, v0
	global_load_dwordx4 v[131:134], v7, s[2:3]
	v_mul_lo_u16 v0, 0xf1, v9
	v_lshrrev_b16 v21, 12, v2
	v_mul_lo_u16 v2, 0xf1, v10
	v_mul_lo_u16 v10, v20, 17
	v_mul_u32_u24_sdwa v9, v5, v11 dst_sel:DWORD dst_unused:UNUSED_PAD src0_sel:WORD_0 src1_sel:DWORD
	v_lshrrev_b16 v22, 12, v0
	v_mul_lo_u16 v0, v21, 17
	v_lshrrev_b16 v23, 12, v2
	v_sub_nc_u16 v25, v4, v10
	v_lshrrev_b32_e32 v24, 20, v9
	v_mul_lo_u16 v2, v22, 17
	v_sub_nc_u16 v26, v8, v0
	v_mul_lo_u16 v0, v23, 17
	v_lshlrev_b32_sdwa v8, v6, v25 dst_sel:DWORD dst_unused:UNUSED_PAD src0_sel:DWORD src1_sel:BYTE_0
	v_mul_lo_u16 v4, v24, 17
	v_sub_nc_u16 v27, v1, v2
	v_lshlrev_b32_sdwa v1, v6, v26 dst_sel:DWORD dst_unused:UNUSED_PAD src0_sel:DWORD src1_sel:BYTE_0
	v_sub_nc_u16 v28, v3, v0
	global_load_dwordx4 v[135:138], v8, s[2:3]
	v_sub_nc_u16 v29, v5, v4
	v_lshlrev_b32_sdwa v0, v6, v27 dst_sel:DWORD dst_unused:UNUSED_PAD src0_sel:DWORD src1_sel:BYTE_0
	global_load_dwordx4 v[139:142], v1, s[2:3]
	v_add_lshl_u32 v211, v168, v220, 4
	v_lshlrev_b32_sdwa v2, v6, v28 dst_sel:DWORD dst_unused:UNUSED_PAD src0_sel:DWORD src1_sel:BYTE_0
	v_lshlrev_b32_sdwa v1, v6, v29 dst_sel:DWORD dst_unused:UNUSED_PAD src0_sel:DWORD src1_sel:WORD_0
	s_clause 0x2
	global_load_dwordx4 v[143:146], v0, s[2:3]
	global_load_dwordx4 v[127:130], v2, s[2:3]
	;; [unrolled: 1-line block ×3, first 2 shown]
	ds_read_b128 v[41:44], v211 offset:4352
	ds_read_b128 v[45:48], v211 offset:4896
	;; [unrolled: 1-line block ×3, first 2 shown]
	v_cmp_lt_u16_e64 s0, 16, v220
	ds_read_b128 v[53:56], v211 offset:5984
	ds_read_b128 v[57:60], v211 offset:6528
	ds_read_b128 v[61:64], v211
	ds_read_b128 v[65:68], v211 offset:544
	ds_read_b128 v[69:72], v211 offset:7072
	;; [unrolled: 1-line block ×10, first 2 shown]
	v_mov_b32_e32 v30, 34
	v_mad_u16 v24, v24, 34, v29
	v_mad_u16 v29, v38, 34, v37
	v_cndmask_b32_e64 v2, 0, 34, s0
	v_mad_u64_u32 v[0:1], null, 0xf0, v220, s[2:3]
	v_mul_u32_u24_sdwa v20, v20, v30 dst_sel:DWORD dst_unused:UNUSED_PAD src0_sel:WORD_0 src1_sel:DWORD
	v_mul_u32_u24_sdwa v21, v21, v30 dst_sel:DWORD dst_unused:UNUSED_PAD src0_sel:WORD_0 src1_sel:DWORD
	v_add_nc_u32_e32 v31, v36, v2
	v_mul_u32_u24_sdwa v22, v22, v30 dst_sel:DWORD dst_unused:UNUSED_PAD src0_sel:WORD_0 src1_sel:DWORD
	v_mul_u32_u24_sdwa v23, v23, v30 dst_sel:DWORD dst_unused:UNUSED_PAD src0_sel:WORD_0 src1_sel:DWORD
	v_add_nc_u32_sdwa v20, v20, v25 dst_sel:DWORD dst_unused:UNUSED_PAD src0_sel:DWORD src1_sel:BYTE_0
	v_add_nc_u32_sdwa v21, v21, v26 dst_sel:DWORD dst_unused:UNUSED_PAD src0_sel:DWORD src1_sel:BYTE_0
	v_add_lshl_u32 v147, v168, v31, 4
	v_mul_u32_u24_sdwa v31, v39, v30 dst_sel:DWORD dst_unused:UNUSED_PAD src0_sel:WORD_0 src1_sel:DWORD
	v_add_nc_u32_sdwa v22, v22, v27 dst_sel:DWORD dst_unused:UNUSED_PAD src0_sel:DWORD src1_sel:BYTE_0
	s_mov_b32 s0, 0x667f3bcd
	s_mov_b32 s1, 0xbfe6a09e
	;; [unrolled: 1-line block ×3, first 2 shown]
	v_add_nc_u32_sdwa v30, v31, v40 dst_sel:DWORD dst_unused:UNUSED_PAD src0_sel:DWORD src1_sel:BYTE_0
	s_mov_b32 s2, s0
	s_mov_b32 s8, 0xcf328d46
	;; [unrolled: 1-line block ×9, first 2 shown]
	v_lshl_add_u32 v210, v220, 4, v209
	s_waitcnt vmcnt(7) lgkmcnt(15)
	v_mul_f64 v[2:3], v[43:44], v[121:122]
	s_waitcnt vmcnt(6) lgkmcnt(14)
	v_mul_f64 v[6:7], v[47:48], v[34:35]
	v_mul_f64 v[4:5], v[41:42], v[121:122]
	;; [unrolled: 1-line block ×3, first 2 shown]
	s_waitcnt vmcnt(5) lgkmcnt(13)
	v_mul_f64 v[10:11], v[51:52], v[133:134]
	v_mul_f64 v[12:13], v[49:50], v[133:134]
	v_fma_f64 v[2:3], v[41:42], v[119:120], -v[2:3]
	buffer_store_dword v119, off, s[60:63], 0 offset:16 ; 4-byte Folded Spill
	buffer_store_dword v120, off, s[60:63], 0 offset:20 ; 4-byte Folded Spill
	buffer_store_dword v121, off, s[60:63], 0 offset:24 ; 4-byte Folded Spill
	buffer_store_dword v122, off, s[60:63], 0 offset:28 ; 4-byte Folded Spill
	v_fma_f64 v[6:7], v[45:46], v[32:33], -v[6:7]
	buffer_store_dword v32, off, s[60:63], 0 ; 4-byte Folded Spill
	buffer_store_dword v33, off, s[60:63], 0 offset:4 ; 4-byte Folded Spill
	buffer_store_dword v34, off, s[60:63], 0 offset:8 ; 4-byte Folded Spill
	;; [unrolled: 1-line block ×3, first 2 shown]
	s_waitcnt vmcnt(4) lgkmcnt(12)
	v_mul_f64 v[14:15], v[55:56], v[137:138]
	v_mul_f64 v[16:17], v[53:54], v[137:138]
	v_fma_f64 v[10:11], v[49:50], v[131:132], -v[10:11]
	buffer_store_dword v131, off, s[60:63], 0 offset:64 ; 4-byte Folded Spill
	buffer_store_dword v132, off, s[60:63], 0 offset:68 ; 4-byte Folded Spill
	;; [unrolled: 1-line block ×4, first 2 shown]
	s_waitcnt vmcnt(3) lgkmcnt(11)
	v_mul_f64 v[18:19], v[59:60], v[141:142]
	v_mul_f64 v[105:106], v[57:58], v[141:142]
	s_waitcnt vmcnt(2) lgkmcnt(8)
	v_mul_f64 v[107:108], v[71:72], v[145:146]
	s_waitcnt vmcnt(1) lgkmcnt(7)
	;; [unrolled: 2-line block ×3, first 2 shown]
	v_mul_f64 v[115:116], v[87:88], v[125:126]
	v_mul_f64 v[109:110], v[69:70], v[145:146]
	;; [unrolled: 1-line block ×4, first 2 shown]
	v_add_f64 v[36:37], v[61:62], -v[2:3]
	v_add_f64 v[40:41], v[65:66], -v[6:7]
	v_add_nc_u32_sdwa v2, v23, v28 dst_sel:DWORD dst_unused:UNUSED_PAD src0_sel:DWORD src1_sel:BYTE_0
	v_and_b32_e32 v3, 0xffff, v24
	v_add_lshl_u32 v7, v168, v20, 4
	v_add_lshl_u32 v6, v168, v21, 4
	v_fma_f64 v[14:15], v[53:54], v[135:136], -v[14:15]
	buffer_store_dword v135, off, s[60:63], 0 offset:80 ; 4-byte Folded Spill
	buffer_store_dword v136, off, s[60:63], 0 offset:84 ; 4-byte Folded Spill
	buffer_store_dword v137, off, s[60:63], 0 offset:88 ; 4-byte Folded Spill
	buffer_store_dword v138, off, s[60:63], 0 offset:92 ; 4-byte Folded Spill
	v_fma_f64 v[18:19], v[57:58], v[139:140], -v[18:19]
	buffer_store_dword v139, off, s[60:63], 0 offset:96 ; 4-byte Folded Spill
	buffer_store_dword v140, off, s[60:63], 0 offset:100 ; 4-byte Folded Spill
	;; [unrolled: 1-line block ×4, first 2 shown]
	v_fma_f64 v[4:5], v[43:44], v[119:120], v[4:5]
	v_add_f64 v[44:45], v[77:78], -v[10:11]
	v_fma_f64 v[8:9], v[47:48], v[32:33], v[8:9]
	v_add_f64 v[48:49], v[81:82], -v[14:15]
	v_fma_f64 v[12:13], v[51:52], v[131:132], v[12:13]
	s_waitcnt lgkmcnt(3)
	v_add_f64 v[52:53], v[89:90], -v[18:19]
	v_add_f64 v[38:39], v[63:64], -v[4:5]
	v_fma_f64 v[77:78], v[77:78], 2.0, -v[44:45]
	v_add_f64 v[42:43], v[67:68], -v[8:9]
	v_fma_f64 v[81:82], v[81:82], 2.0, -v[48:49]
	v_and_b32_e32 v4, 0xff, v29
	v_add_lshl_u32 v8, v168, v30, 4
	v_add_lshl_u32 v5, v168, v22, 4
	;; [unrolled: 1-line block ×3, first 2 shown]
	v_fma_f64 v[16:17], v[55:56], v[135:136], v[16:17]
	v_fma_f64 v[56:57], v[69:70], v[143:144], -v[107:108]
	buffer_store_dword v143, off, s[60:63], 0 offset:112 ; 4-byte Folded Spill
	buffer_store_dword v144, off, s[60:63], 0 offset:116 ; 4-byte Folded Spill
	buffer_store_dword v145, off, s[60:63], 0 offset:120 ; 4-byte Folded Spill
	buffer_store_dword v146, off, s[60:63], 0 offset:124 ; 4-byte Folded Spill
	v_fma_f64 v[69:70], v[73:74], v[127:128], -v[111:112]
	buffer_store_dword v127, off, s[60:63], 0 offset:48 ; 4-byte Folded Spill
	buffer_store_dword v128, off, s[60:63], 0 offset:52 ; 4-byte Folded Spill
	buffer_store_dword v129, off, s[60:63], 0 offset:56 ; 4-byte Folded Spill
	buffer_store_dword v130, off, s[60:63], 0 offset:60 ; 4-byte Folded Spill
	;; [unrolled: 5-line block ×3, first 2 shown]
	v_fma_f64 v[54:55], v[59:60], v[139:140], v[105:106]
	v_add_f64 v[46:47], v[79:80], -v[12:13]
	v_fma_f64 v[60:61], v[61:62], 2.0, -v[36:37]
	v_fma_f64 v[85:86], v[89:90], 2.0, -v[52:53]
	v_add_lshl_u32 v4, v168, v2, 4
	v_fma_f64 v[62:63], v[63:64], 2.0, -v[38:39]
	v_fma_f64 v[64:65], v[65:66], 2.0, -v[40:41]
	;; [unrolled: 1-line block ×3, first 2 shown]
	v_add_lshl_u32 v2, v168, v3, 4
	s_waitcnt lgkmcnt(0)
	s_waitcnt_vscnt null, 0x0
	s_barrier
	buffer_gl0_inv
	ds_write_b128 v147, v[36:39] offset:272
	buffer_store_dword v147, off, s[60:63], 0 offset:160 ; 4-byte Folded Spill
	v_lshl_add_u32 v39, v220, 4, v209
	v_add_f64 v[50:51], v[83:84], -v[16:17]
	v_add_f64 v[56:57], v[93:94], -v[56:57]
	ds_write_b128 v147, v[60:63]
	ds_write_b128 v9, v[40:43] offset:272
	v_add_f64 v[54:55], v[91:92], -v[54:55]
	v_add_f64 v[69:70], v[97:98], -v[69:70]
	;; [unrolled: 1-line block ×3, first 2 shown]
	v_fma_f64 v[79:80], v[79:80], 2.0, -v[46:47]
	buffer_store_dword v9, off, s[60:63], 0 offset:192 ; 4-byte Folded Spill
	ds_write_b128 v9, v[64:67]
	ds_write_b128 v8, v[77:80]
	v_fma_f64 v[83:84], v[83:84], 2.0, -v[50:51]
	v_fma_f64 v[89:90], v[93:94], 2.0, -v[56:57]
	;; [unrolled: 1-line block ×4, first 2 shown]
	buffer_store_dword v8, off, s[60:63], 0 offset:184 ; 4-byte Folded Spill
	ds_write_b128 v8, v[44:47] offset:272
	ds_write_b128 v7, v[81:84]
	buffer_store_dword v7, off, s[60:63], 0 offset:180 ; 4-byte Folded Spill
	v_mov_b32_e32 v41, v209
	v_fma_f64 v[58:59], v[71:72], v[143:144], v[109:110]
	v_fma_f64 v[71:72], v[75:76], v[127:128], v[113:114]
	;; [unrolled: 1-line block ×3, first 2 shown]
	v_fma_f64 v[87:88], v[91:92], 2.0, -v[54:55]
	ds_write_b128 v7, v[48:51] offset:272
	ds_write_b128 v6, v[85:88]
	v_add_f64 v[58:59], v[95:96], -v[58:59]
	v_add_f64 v[71:72], v[99:100], -v[71:72]
	;; [unrolled: 1-line block ×3, first 2 shown]
	buffer_store_dword v6, off, s[60:63], 0 offset:176 ; 4-byte Folded Spill
	v_fma_f64 v[91:92], v[95:96], 2.0, -v[58:59]
	v_fma_f64 v[95:96], v[99:100], 2.0, -v[71:72]
	v_fma_f64 v[99:100], v[103:104], 2.0, -v[75:76]
	ds_write_b128 v6, v[52:55] offset:272
	ds_write_b128 v5, v[89:92]
	buffer_store_dword v5, off, s[60:63], 0 offset:172 ; 4-byte Folded Spill
	ds_write_b128 v5, v[56:59] offset:272
	ds_write_b128 v4, v[93:96]
	buffer_store_dword v4, off, s[60:63], 0 offset:168 ; 4-byte Folded Spill
	;; [unrolled: 3-line block ×3, first 2 shown]
	ds_write_b128 v2, v[73:76] offset:272
	s_waitcnt lgkmcnt(0)
	s_waitcnt_vscnt null, 0x0
	s_barrier
	buffer_gl0_inv
	s_clause 0xe
	global_load_dwordx4 v[48:51], v[0:1], off offset:272
	global_load_dwordx4 v[44:47], v[0:1], off offset:288
	;; [unrolled: 1-line block ×15, first 2 shown]
	ds_read_b128 v[96:99], v211 offset:544
	ds_read_b128 v[100:103], v211 offset:1088
	;; [unrolled: 1-line block ×5, first 2 shown]
	ds_read_b128 v[116:119], v211
	ds_read_b128 v[120:123], v211 offset:3264
	ds_read_b128 v[124:127], v211 offset:3808
	;; [unrolled: 1-line block ×10, first 2 shown]
	s_waitcnt vmcnt(14) lgkmcnt(15)
	v_mul_f64 v[0:1], v[98:99], v[50:51]
	v_mul_f64 v[2:3], v[96:97], v[50:51]
	s_waitcnt vmcnt(12) lgkmcnt(13)
	v_mul_f64 v[8:9], v[106:107], v[22:23]
	s_waitcnt vmcnt(11) lgkmcnt(12)
	v_mul_f64 v[12:13], v[110:111], v[26:27]
	v_mul_f64 v[10:11], v[104:105], v[22:23]
	;; [unrolled: 1-line block ×5, first 2 shown]
	s_waitcnt vmcnt(10) lgkmcnt(11)
	v_mul_f64 v[16:17], v[114:115], v[58:59]
	v_mul_f64 v[18:19], v[112:113], v[58:59]
	s_waitcnt vmcnt(9) lgkmcnt(9)
	v_mul_f64 v[160:161], v[122:123], v[66:67]
	v_mul_f64 v[162:163], v[120:121], v[66:67]
	;; [unrolled: 3-line block ×7, first 2 shown]
	s_waitcnt vmcnt(3)
	v_mul_f64 v[184:185], v[142:143], v[70:71]
	v_mul_f64 v[186:187], v[140:141], v[70:71]
	v_fma_f64 v[8:9], v[104:105], v[20:21], -v[8:9]
	buffer_store_dword v20, off, s[60:63], 0 offset:128 ; 4-byte Folded Spill
	buffer_store_dword v21, off, s[60:63], 0 offset:132 ; 4-byte Folded Spill
	;; [unrolled: 1-line block ×4, first 2 shown]
	v_fma_f64 v[12:13], v[108:109], v[24:25], -v[12:13]
	buffer_store_dword v24, off, s[60:63], 0 offset:144 ; 4-byte Folded Spill
	buffer_store_dword v25, off, s[60:63], 0 offset:148 ; 4-byte Folded Spill
	;; [unrolled: 1-line block ×4, first 2 shown]
	s_waitcnt vmcnt(2) lgkmcnt(1)
	v_mul_f64 v[189:190], v[154:155], v[94:95]
	v_mul_f64 v[191:192], v[152:153], v[94:95]
	s_waitcnt vmcnt(1)
	v_mul_f64 v[194:195], v[150:151], v[90:91]
	v_mul_f64 v[196:197], v[148:149], v[90:91]
	s_waitcnt vmcnt(0) lgkmcnt(0)
	v_mul_f64 v[198:199], v[158:159], v[86:87]
	v_mul_f64 v[200:201], v[156:157], v[86:87]
	v_fma_f64 v[0:1], v[96:97], v[48:49], -v[0:1]
	v_fma_f64 v[2:3], v[98:99], v[48:49], v[2:3]
	v_fma_f64 v[4:5], v[100:101], v[44:45], -v[4:5]
	v_fma_f64 v[6:7], v[102:103], v[44:45], v[6:7]
	;; [unrolled: 2-line block ×4, first 2 shown]
	v_fma_f64 v[104:105], v[144:145], v[80:81], -v[180:181]
	v_fma_f64 v[108:109], v[136:137], v[76:77], -v[176:177]
	;; [unrolled: 1-line block ×3, first 2 shown]
	v_fma_f64 v[18:19], v[114:115], v[56:57], v[18:19]
	v_fma_f64 v[112:113], v[132:133], v[72:73], -v[172:173]
	v_fma_f64 v[114:115], v[134:135], v[72:73], v[174:175]
	v_fma_f64 v[124:125], v[124:125], v[52:53], -v[164:165]
	;; [unrolled: 2-line block ×5, first 2 shown]
	v_fma_f64 v[134:135], v[142:143], v[68:69], v[186:187]
	v_fma_f64 v[136:137], v[158:159], v[84:85], v[200:201]
	v_add_f64 v[100:101], v[116:117], -v[100:101]
	v_add_f64 v[102:103], v[118:119], -v[102:103]
	;; [unrolled: 1-line block ×12, first 2 shown]
	v_fma_f64 v[116:117], v[116:117], 2.0, -v[100:101]
	v_fma_f64 v[118:119], v[118:119], 2.0, -v[102:103]
	;; [unrolled: 1-line block ×3, first 2 shown]
	v_add_f64 v[104:105], v[102:103], v[104:105]
	v_fma_f64 v[4:5], v[4:5], 2.0, -v[108:109]
	v_fma_f64 v[0:1], v[0:1], 2.0, -v[112:113]
	;; [unrolled: 1-line block ×5, first 2 shown]
	v_add_f64 v[122:123], v[108:109], -v[122:123]
	v_fma_f64 v[16:17], v[16:17], 2.0, -v[128:129]
	v_fma_f64 v[18:19], v[18:19], 2.0, -v[130:131]
	v_add_f64 v[130:131], v[112:113], -v[130:131]
	v_add_f64 v[128:129], v[114:115], v[128:129]
	v_add_f64 v[140:141], v[132:133], -v[136:137]
	v_fma_f64 v[8:9], v[8:9], 2.0, -v[132:133]
	v_fma_f64 v[126:127], v[126:127], 2.0, -v[136:137]
	v_add_f64 v[12:13], v[116:117], -v[12:13]
	v_fma_f64 v[102:103], v[102:103], 2.0, -v[104:105]
	v_add_f64 v[96:97], v[4:5], -v[96:97]
	;; [unrolled: 2-line block ×3, first 2 shown]
	v_add_f64 v[18:19], v[2:3], -v[18:19]
	v_fma_f64 v[112:113], v[112:113], 2.0, -v[130:131]
	v_fma_f64 v[114:115], v[114:115], 2.0, -v[128:129]
	;; [unrolled: 1-line block ×3, first 2 shown]
	v_fma_f64 v[144:145], v[140:141], s[2:3], v[130:131]
	v_fma_f64 v[116:117], v[116:117], 2.0, -v[12:13]
	v_fma_f64 v[4:5], v[4:5], 2.0, -v[96:97]
	;; [unrolled: 1-line block ×4, first 2 shown]
	v_fma_f64 v[152:153], v[132:133], s[0:1], v[112:113]
	v_add_f64 v[4:5], v[116:117], -v[4:5]
	v_fma_f64 v[10:11], v[106:107], v[20:21], v[10:11]
	v_fma_f64 v[106:107], v[146:147], v[80:81], v[182:183]
	;; [unrolled: 1-line block ×4, first 2 shown]
	v_fma_f64 v[138:139], v[156:157], v[84:85], -v[198:199]
	v_add_f64 v[134:135], v[10:11], -v[134:135]
	v_add_f64 v[106:107], v[14:15], -v[106:107]
	;; [unrolled: 1-line block ×4, first 2 shown]
	v_fma_f64 v[10:11], v[10:11], 2.0, -v[134:135]
	v_fma_f64 v[14:15], v[14:15], 2.0, -v[106:107]
	v_add_f64 v[106:107], v[100:101], -v[106:107]
	v_add_f64 v[120:121], v[110:111], v[120:121]
	v_add_f64 v[142:143], v[134:135], v[138:139]
	v_fma_f64 v[6:7], v[6:7], 2.0, -v[110:111]
	v_fma_f64 v[124:125], v[124:125], 2.0, -v[138:139]
	v_add_f64 v[126:127], v[10:11], -v[126:127]
	v_add_f64 v[14:15], v[118:119], -v[14:15]
	v_fma_f64 v[100:101], v[100:101], 2.0, -v[106:107]
	v_fma_f64 v[110:111], v[110:111], 2.0, -v[120:121]
	;; [unrolled: 1-line block ×3, first 2 shown]
	v_add_f64 v[98:99], v[6:7], -v[98:99]
	v_fma_f64 v[136:137], v[122:123], s[2:3], v[106:107]
	v_fma_f64 v[138:139], v[120:121], s[2:3], v[104:105]
	v_add_f64 v[124:125], v[8:9], -v[124:125]
	v_fma_f64 v[146:147], v[142:143], s[2:3], v[128:129]
	v_fma_f64 v[144:145], v[142:143], s[0:1], v[144:145]
	v_fma_f64 v[10:11], v[10:11], 2.0, -v[126:127]
	v_fma_f64 v[118:119], v[118:119], 2.0, -v[14:15]
	v_fma_f64 v[148:149], v[108:109], s[0:1], v[100:101]
	v_fma_f64 v[150:151], v[110:111], s[0:1], v[102:103]
	;; [unrolled: 1-line block ×3, first 2 shown]
	v_fma_f64 v[6:7], v[6:7], 2.0, -v[98:99]
	v_add_f64 v[98:99], v[12:13], -v[98:99]
	v_add_f64 v[96:97], v[14:15], v[96:97]
	v_fma_f64 v[160:161], v[120:121], s[0:1], v[136:137]
	v_fma_f64 v[162:163], v[122:123], s[2:3], v[138:139]
	v_fma_f64 v[8:9], v[8:9], 2.0, -v[124:125]
	v_add_f64 v[122:123], v[16:17], -v[126:127]
	v_add_f64 v[120:121], v[18:19], v[124:125]
	v_fma_f64 v[146:147], v[140:141], s[2:3], v[146:147]
	v_fma_f64 v[124:125], v[130:131], 2.0, -v[144:145]
	v_fma_f64 v[130:131], v[116:117], 2.0, -v[4:5]
	v_add_f64 v[10:11], v[2:3], -v[10:11]
	v_fma_f64 v[164:165], v[110:111], s[0:1], v[148:149]
	v_fma_f64 v[166:167], v[108:109], s[2:3], v[150:151]
	;; [unrolled: 1-line block ×4, first 2 shown]
	v_add_f64 v[6:7], v[118:119], -v[6:7]
	v_fma_f64 v[12:13], v[12:13], 2.0, -v[98:99]
	v_fma_f64 v[14:15], v[14:15], 2.0, -v[96:97]
	;; [unrolled: 1-line block ×4, first 2 shown]
	v_add_f64 v[8:9], v[0:1], -v[8:9]
	v_fma_f64 v[16:17], v[16:17], 2.0, -v[122:123]
	v_fma_f64 v[18:19], v[18:19], 2.0, -v[120:121]
	;; [unrolled: 1-line block ×3, first 2 shown]
	v_fma_f64 v[128:129], v[122:123], s[2:3], v[98:99]
	v_fma_f64 v[154:155], v[144:145], s[18:19], v[160:161]
	;; [unrolled: 1-line block ×3, first 2 shown]
	v_fma_f64 v[2:3], v[2:3], 2.0, -v[10:11]
	v_add_f64 v[140:141], v[4:5], -v[10:11]
	v_fma_f64 v[168:169], v[100:101], 2.0, -v[164:165]
	v_fma_f64 v[170:171], v[102:103], 2.0, -v[166:167]
	v_fma_f64 v[112:113], v[112:113], 2.0, -v[108:109]
	v_fma_f64 v[114:115], v[114:115], 2.0, -v[110:111]
	v_fma_f64 v[100:101], v[120:121], s[2:3], v[96:97]
	v_fma_f64 v[172:173], v[118:119], 2.0, -v[6:7]
	v_fma_f64 v[134:135], v[108:109], s[16:17], v[164:165]
	v_fma_f64 v[118:119], v[124:125], s[10:11], v[106:107]
	;; [unrolled: 1-line block ×3, first 2 shown]
	v_fma_f64 v[0:1], v[0:1], 2.0, -v[8:9]
	v_fma_f64 v[102:103], v[16:17], s[0:1], v[12:13]
	v_fma_f64 v[116:117], v[18:19], s[0:1], v[14:15]
	;; [unrolled: 1-line block ×3, first 2 shown]
	v_add_f64 v[142:143], v[6:7], v[8:9]
	v_fma_f64 v[120:121], v[120:121], s[0:1], v[128:129]
	v_fma_f64 v[10:11], v[112:113], s[8:9], v[168:169]
	;; [unrolled: 1-line block ×4, first 2 shown]
	v_add_f64 v[138:139], v[172:173], -v[2:3]
	v_fma_f64 v[100:101], v[146:147], s[10:11], v[154:155]
	v_fma_f64 v[156:157], v[126:127], s[8:9], v[118:119]
	v_fma_f64 v[126:127], v[108:109], s[18:19], v[152:153]
	v_add_f64 v[136:137], v[130:131], -v[0:1]
	v_fma_f64 v[148:149], v[18:19], s[0:1], v[102:103]
	v_fma_f64 v[150:151], v[16:17], s[2:3], v[116:117]
	v_fma_f64 v[158:159], v[124:125], s[18:19], v[132:133]
	v_fma_f64 v[124:125], v[110:111], s[8:9], v[134:135]
	v_fma_f64 v[102:103], v[144:145], s[16:17], v[174:175]
	v_fma_f64 v[116:117], v[4:5], 2.0, -v[140:141]
	v_fma_f64 v[118:119], v[6:7], 2.0, -v[142:143]
	;; [unrolled: 1-line block ×3, first 2 shown]
	v_fma_f64 v[152:153], v[114:115], s[10:11], v[10:11]
	v_fma_f64 v[154:155], v[112:113], s[16:17], v[176:177]
	v_fma_f64 v[134:135], v[96:97], 2.0, -v[122:123]
	v_fma_f64 v[98:99], v[172:173], 2.0, -v[138:139]
	;; [unrolled: 1-line block ×13, first 2 shown]
	ds_write_b128 v39, v[96:99]
	ds_write_b128 v210, v[108:111] offset:1088
	ds_write_b128 v210, v[112:115] offset:1632
	;; [unrolled: 1-line block ×15, first 2 shown]
	s_waitcnt lgkmcnt(0)
	s_waitcnt_vscnt null, 0x0
	s_barrier
	buffer_gl0_inv
	s_and_saveexec_b32 s2, vcc_lo
	s_cbranch_execz .LBB0_9
; %bb.8:
	s_add_u32 s0, s12, 0x2200
	s_addc_u32 s1, s13, 0
	v_or_b32_e32 v0, 0x800, v206
	s_clause 0x2
	global_load_dwordx4 v[160:163], v206, s[0:1]
	global_load_dwordx4 v[164:167], v206, s[0:1] offset:512
	global_load_dwordx4 v[168:171], v206, s[0:1] offset:1024
	v_or_b32_e32 v1, 0xa00, v206
	global_load_dwordx4 v[172:175], v206, s[0:1] offset:1536
	v_mov_b32_e32 v32, v206
	global_load_dwordx4 v[176:179], v0, s[0:1]
	v_or_b32_e32 v0, 0xc00, v206
	s_clause 0x1
	global_load_dwordx4 v[184:187], v1, s[0:1]
	global_load_dwordx4 v[180:183], v0, s[0:1]
	v_or_b32_e32 v0, 0xe00, v206
	v_or_b32_e32 v1, 0x1800, v206
	v_mov_b32_e32 v33, v207
	v_mov_b32_e32 v34, v208
	;; [unrolled: 1-line block ×3, first 2 shown]
	s_clause 0x1
	global_load_dwordx4 v[189:192], v0, s[0:1]
	global_load_dwordx4 v[237:240], v1, s[0:1]
	v_or_b32_e32 v0, 0x1000, v206
	v_or_b32_e32 v1, 0x1c00, v206
	v_mov_b32_e32 v36, v213
	v_mov_b32_e32 v37, v214
	;; [unrolled: 1-line block ×3, first 2 shown]
	s_clause 0x1
	global_load_dwordx4 v[221:224], v0, s[0:1]
	global_load_dwordx4 v[245:248], v1, s[0:1]
	v_or_b32_e32 v0, 0x1200, v206
	v_or_b32_e32 v1, 0x2000, v206
	global_load_dwordx4 v[225:228], v0, s[0:1]
	v_or_b32_e32 v0, 0x1400, v206
	global_load_dwordx4 v[229:232], v0, s[0:1]
	;; [unrolled: 2-line block ×4, first 2 shown]
	v_or_b32_e32 v0, 0x1e00, v206
	s_clause 0x1
	global_load_dwordx4 v[249:252], v0, s[0:1]
	global_load_dwordx4 v[194:197], v1, s[0:1]
	ds_read_b128 v[198:201], v208
	s_waitcnt vmcnt(16) lgkmcnt(0)
	v_mul_f64 v[0:1], v[200:201], v[162:163]
	v_mul_f64 v[2:3], v[198:199], v[162:163]
	v_fma_f64 v[198:199], v[198:199], v[160:161], -v[0:1]
	v_fma_f64 v[200:201], v[200:201], v[160:161], v[2:3]
	ds_write_b128 v208, v[198:201]
	ds_read_b128 v[160:163], v210 offset:512
	ds_read_b128 v[198:201], v210 offset:1024
	;; [unrolled: 1-line block ×8, first 2 shown]
	s_waitcnt vmcnt(15) lgkmcnt(7)
	v_mul_f64 v[8:9], v[162:163], v[166:167]
	v_mul_f64 v[10:11], v[160:161], v[166:167]
	s_waitcnt vmcnt(14) lgkmcnt(6)
	v_mul_f64 v[12:13], v[200:201], v[170:171]
	v_mul_f64 v[14:15], v[198:199], v[170:171]
	;; [unrolled: 3-line block ×5, first 2 shown]
	s_waitcnt vmcnt(10) lgkmcnt(2)
	v_mul_f64 v[24:25], v[0:1], v[182:183]
	s_waitcnt vmcnt(9) lgkmcnt(1)
	v_mul_f64 v[26:27], v[218:219], v[191:192]
	v_mul_f64 v[186:187], v[2:3], v[182:183]
	;; [unrolled: 1-line block ×3, first 2 shown]
	s_waitcnt vmcnt(7) lgkmcnt(0)
	v_mul_f64 v[28:29], v[6:7], v[223:224]
	v_mul_f64 v[30:31], v[4:5], v[223:224]
	v_fma_f64 v[160:161], v[160:161], v[164:165], -v[8:9]
	v_fma_f64 v[162:163], v[162:163], v[164:165], v[10:11]
	ds_read_b128 v[164:167], v210 offset:4608
	v_fma_f64 v[198:199], v[198:199], v[168:169], -v[12:13]
	v_fma_f64 v[200:201], v[200:201], v[168:169], v[14:15]
	ds_read_b128 v[168:171], v210 offset:5120
	;; [unrolled: 3-line block ×3, first 2 shown]
	ds_read_b128 v[8:11], v210 offset:6144
	v_fma_f64 v[212:213], v[212:213], v[176:177], -v[254:255]
	v_fma_f64 v[214:215], v[214:215], v[176:177], v[178:179]
	v_fma_f64 v[176:177], v[202:203], v[184:185], -v[20:21]
	v_fma_f64 v[178:179], v[204:205], v[184:185], v[22:23]
	ds_read_b128 v[182:185], v210 offset:6656
	ds_read_b128 v[202:205], v210 offset:7168
	v_fma_f64 v[2:3], v[2:3], v[180:181], v[24:25]
	ds_read_b128 v[12:15], v210 offset:7680
	ds_read_b128 v[16:19], v210 offset:8192
	v_fma_f64 v[216:217], v[216:217], v[189:190], -v[26:27]
	v_fma_f64 v[0:1], v[0:1], v[180:181], -v[186:187]
	v_fma_f64 v[218:219], v[218:219], v[189:190], v[191:192]
	v_fma_f64 v[4:5], v[4:5], v[221:222], -v[28:29]
	v_fma_f64 v[6:7], v[6:7], v[221:222], v[30:31]
	ds_write_b128 v210, v[160:163] offset:512
	ds_write_b128 v210, v[198:201] offset:1024
	;; [unrolled: 1-line block ×3, first 2 shown]
	s_waitcnt vmcnt(5) lgkmcnt(10)
	v_mul_f64 v[20:21], v[166:167], v[227:228]
	v_mul_f64 v[22:23], v[164:165], v[227:228]
	s_waitcnt vmcnt(4) lgkmcnt(9)
	v_mul_f64 v[24:25], v[170:171], v[231:232]
	v_mul_f64 v[26:27], v[168:169], v[231:232]
	;; [unrolled: 3-line block ×3, first 2 shown]
	s_waitcnt lgkmcnt(7)
	v_mul_f64 v[189:190], v[10:11], v[239:240]
	v_mul_f64 v[28:29], v[8:9], v[239:240]
	s_waitcnt vmcnt(2) lgkmcnt(6)
	v_mul_f64 v[30:31], v[184:185], v[243:244]
	v_mul_f64 v[191:192], v[182:183], v[243:244]
	s_waitcnt lgkmcnt(5)
	v_mul_f64 v[221:222], v[204:205], v[247:248]
	s_waitcnt vmcnt(1) lgkmcnt(4)
	v_mul_f64 v[223:224], v[12:13], v[251:252]
	ds_write_b128 v210, v[212:215] offset:2048
	v_mov_b32_e32 v215, v38
	v_mov_b32_e32 v208, v34
	;; [unrolled: 1-line block ×7, first 2 shown]
	v_fma_f64 v[164:165], v[164:165], v[225:226], -v[20:21]
	v_mul_f64 v[20:21], v[202:203], v[247:248]
	v_fma_f64 v[166:167], v[166:167], v[225:226], v[22:23]
	v_mul_f64 v[22:23], v[14:15], v[251:252]
	s_waitcnt vmcnt(0) lgkmcnt(4)
	v_mul_f64 v[225:226], v[18:19], v[196:197]
	v_fma_f64 v[168:169], v[168:169], v[229:230], -v[24:25]
	v_mul_f64 v[24:25], v[16:17], v[196:197]
	v_fma_f64 v[170:171], v[170:171], v[229:230], v[26:27]
	v_fma_f64 v[172:173], v[172:173], v[233:234], -v[180:181]
	v_fma_f64 v[174:175], v[174:175], v[233:234], v[186:187]
	v_fma_f64 v[8:9], v[8:9], v[237:238], -v[189:190]
	;; [unrolled: 2-line block ×4, first 2 shown]
	v_fma_f64 v[14:15], v[14:15], v[249:250], v[223:224]
	v_fma_f64 v[186:187], v[204:205], v[245:246], v[20:21]
	v_fma_f64 v[12:13], v[12:13], v[249:250], -v[22:23]
	v_fma_f64 v[16:17], v[16:17], v[194:195], -v[225:226]
	v_fma_f64 v[18:19], v[18:19], v[194:195], v[24:25]
	ds_write_b128 v210, v[176:179] offset:2560
	ds_write_b128 v210, v[0:3] offset:3072
	;; [unrolled: 1-line block ×12, first 2 shown]
.LBB0_9:
	s_or_b32 exec_lo, exec_lo, s2
	s_waitcnt lgkmcnt(0)
	s_barrier
	buffer_gl0_inv
	s_and_saveexec_b32 s0, vcc_lo
	s_cbranch_execz .LBB0_11
; %bb.10:
	ds_read_b128 v[96:99], v208
	ds_read_b128 v[104:107], v39 offset:512
	ds_read_b128 v[108:111], v39 offset:1024
	;; [unrolled: 1-line block ×16, first 2 shown]
.LBB0_11:
	s_or_b32 exec_lo, exec_lo, s0
	buffer_store_dword v39, off, s[60:63], 0 offset:188 ; 4-byte Folded Spill
	s_waitcnt lgkmcnt(0)
	s_waitcnt_vscnt null, 0x0
	s_barrier
	buffer_gl0_inv
	s_and_saveexec_b32 s33, vcc_lo
	s_cbranch_execz .LBB0_13
; %bb.12:
	v_add_f64 v[0:1], v[98:99], v[106:107]
	v_add_f64 v[2:3], v[96:97], v[104:105]
	v_add_f64 v[191:192], v[104:105], -v[212:213]
	v_add_f64 v[189:190], v[106:107], -v[214:215]
	s_mov_b32 s18, 0xacd6c6b4
	s_mov_b32 s19, 0xbfc7851a
	v_add_f64 v[182:183], v[108:109], -v[100:101]
	v_add_f64 v[178:179], v[110:111], -v[102:103]
	v_add_f64 v[186:187], v[214:215], v[106:107]
	v_add_f64 v[184:185], v[212:213], v[104:105]
	s_mov_b32 s16, 0x5d8e7cdc
	s_mov_b32 s0, 0x7faef3
	;; [unrolled: 1-line block ×8, first 2 shown]
	v_add_f64 v[162:163], v[136:137], -v[152:153]
	v_add_f64 v[164:165], v[146:147], -v[150:151]
	s_mov_b32 s2, 0x370991
	s_mov_b32 s8, 0x910ea3b9
	v_add_f64 v[0:1], v[110:111], v[0:1]
	v_add_f64 v[2:3], v[108:109], v[2:3]
	v_mul_f64 v[4:5], v[191:192], s[18:19]
	v_mul_f64 v[6:7], v[189:190], s[18:19]
	;; [unrolled: 1-line block ×8, first 2 shown]
	s_mov_b32 s10, 0x6ed5f1bb
	s_mov_b32 s38, 0x7c9e640b
	;; [unrolled: 1-line block ×10, first 2 shown]
	v_add_f64 v[160:161], v[154:155], v[138:139]
	v_add_f64 v[166:167], v[144:145], -v[148:149]
	v_add_f64 v[0:1], v[114:115], v[0:1]
	v_add_f64 v[2:3], v[112:113], v[2:3]
	v_fma_f64 v[10:11], v[186:187], s[0:1], v[4:5]
	v_fma_f64 v[18:19], v[184:185], s[0:1], -v[6:7]
	v_fma_f64 v[4:5], v[186:187], s[0:1], -v[4:5]
	v_add_f64 v[170:171], v[130:131], -v[142:143]
	v_add_f64 v[174:175], v[116:117], -v[124:125]
	;; [unrolled: 1-line block ×4, first 2 shown]
	v_mul_f64 v[30:31], v[182:183], s[38:39]
	v_fma_f64 v[6:7], v[184:185], s[0:1], v[6:7]
	v_mul_f64 v[104:105], v[182:183], s[44:45]
	v_fma_f64 v[106:107], v[186:187], s[8:9], v[12:13]
	v_fma_f64 v[12:13], v[186:187], s[8:9], -v[12:13]
	s_mov_b32 s26, 0x2b2883cd
	s_mov_b32 s30, 0xeb564b22
	;; [unrolled: 1-line block ×6, first 2 shown]
	v_add_f64 v[168:169], v[132:133], -v[156:157]
	v_add_f64 v[172:173], v[118:119], -v[126:127]
	v_add_f64 v[0:1], v[118:119], v[0:1]
	v_add_f64 v[2:3], v[116:117], v[2:3]
	;; [unrolled: 1-line block ×5, first 2 shown]
	s_mov_b32 s22, 0x2a9d6da3
	s_mov_b32 s34, 0x3259b75e
	v_mul_f64 v[26:27], v[180:181], s[20:21]
	v_mul_f64 v[28:29], v[176:177], s[20:21]
	s_mov_b32 s23, 0x3fe58eea
	v_add_f64 v[6:7], v[96:97], v[6:7]
	s_mov_b32 s35, 0x3fb79ee6
	v_add_f64 v[106:107], v[98:99], v[106:107]
	v_add_f64 v[12:13], v[98:99], v[12:13]
	s_mov_b32 s47, 0xbfd71e95
	s_mov_b32 s46, s16
	s_mov_b32 s36, 0x75d4884
	s_mov_b32 s37, 0x3fe7a5f6
	s_mov_b32 s49, 0x3fe9895b
	s_mov_b32 s48, s24
	s_mov_b32 s53, 0xbfe58eea
	s_mov_b32 s52, s22
	v_add_f64 v[0:1], v[130:131], v[0:1]
	v_add_f64 v[2:3], v[128:129], v[2:3]
	s_mov_b32 s51, 0xbfeca52d
	s_mov_b32 s50, s38
	v_mov_b32_e32 v38, v206
	v_mov_b32_e32 v39, v207
	;; [unrolled: 1-line block ×7, first 2 shown]
	v_add_f64 v[0:1], v[134:135], v[0:1]
	v_add_f64 v[2:3], v[132:133], v[2:3]
	;; [unrolled: 1-line block ×12, first 2 shown]
	v_add_f64 v[154:155], v[138:139], -v[154:155]
	v_add_f64 v[138:139], v[148:149], v[144:145]
	v_add_f64 v[144:145], v[134:135], v[158:159]
	v_fma_f64 v[110:111], v[184:185], s[8:9], -v[14:15]
	v_fma_f64 v[14:15], v[184:185], s[8:9], v[14:15]
	v_add_f64 v[0:1], v[150:151], v[0:1]
	v_add_f64 v[2:3], v[148:149], v[2:3]
	;; [unrolled: 1-line block ×4, first 2 shown]
	v_mul_f64 v[108:109], v[178:179], s[44:45]
	v_fma_f64 v[114:115], v[186:187], s[10:11], v[20:21]
	v_fma_f64 v[20:21], v[186:187], s[10:11], -v[20:21]
	v_add_f64 v[110:111], v[96:97], v[110:111]
	v_add_f64 v[14:15], v[96:97], v[14:15]
	;; [unrolled: 1-line block ×4, first 2 shown]
	v_add_f64 v[158:159], v[134:135], -v[158:159]
	v_add_f64 v[134:135], v[142:143], v[130:131]
	v_add_f64 v[130:131], v[124:125], v[116:117]
	v_fma_f64 v[116:117], v[184:185], s[10:11], -v[22:23]
	v_add_f64 v[156:157], v[128:129], -v[140:141]
	v_add_f64 v[128:129], v[140:141], v[128:129]
	v_fma_f64 v[22:23], v[184:185], s[10:11], v[22:23]
	v_add_f64 v[114:115], v[98:99], v[114:115]
	v_add_f64 v[20:21], v[98:99], v[20:21]
	;; [unrolled: 1-line block ×5, first 2 shown]
	v_fma_f64 v[112:113], v[150:151], s[2:3], -v[16:17]
	v_add_f64 v[140:141], v[126:127], v[118:119]
	v_mul_f64 v[118:119], v[176:177], s[40:41]
	v_fma_f64 v[16:17], v[150:151], s[2:3], v[16:17]
	v_add_f64 v[116:117], v[96:97], v[116:117]
	v_add_f64 v[22:23], v[96:97], v[22:23]
	;; [unrolled: 1-line block ×4, first 2 shown]
	v_mul_f64 v[126:127], v[191:192], s[40:41]
	v_add_f64 v[18:19], v[112:113], v[18:19]
	v_fma_f64 v[112:113], v[152:153], s[28:29], v[104:105]
	v_fma_f64 v[104:105], v[152:153], s[28:29], -v[104:105]
	v_add_f64 v[6:7], v[16:17], v[6:7]
	v_mul_f64 v[16:17], v[180:181], s[46:47]
	v_add_f64 v[0:1], v[122:123], v[0:1]
	v_add_f64 v[2:3], v[120:121], v[2:3]
	v_fma_f64 v[120:121], v[152:153], s[26:27], v[30:31]
	v_fma_f64 v[30:31], v[152:153], s[26:27], -v[30:31]
	v_add_f64 v[112:113], v[112:113], v[114:115]
	v_add_f64 v[20:21], v[104:105], v[20:21]
	v_mul_f64 v[104:105], v[172:173], s[22:23]
	v_mul_f64 v[122:123], v[162:163], s[38:39]
	v_add_f64 v[0:1], v[102:103], v[0:1]
	v_add_f64 v[24:25], v[100:101], v[2:3]
	v_fma_f64 v[100:101], v[152:153], s[2:3], v[8:9]
	v_mul_f64 v[102:103], v[178:179], s[38:39]
	v_fma_f64 v[8:9], v[152:153], s[2:3], -v[8:9]
	v_add_f64 v[106:107], v[120:121], v[106:107]
	v_fma_f64 v[120:121], v[148:149], s[8:9], v[26:27]
	v_add_f64 v[12:13], v[30:31], v[12:13]
	v_mul_f64 v[30:31], v[176:177], s[46:47]
	v_fma_f64 v[26:27], v[148:149], s[8:9], -v[26:27]
	v_fma_f64 v[124:125], v[160:161], s[26:27], v[122:123]
	v_add_f64 v[2:3], v[214:215], v[0:1]
	v_add_f64 v[0:1], v[212:213], v[24:25]
	v_mul_f64 v[24:25], v[180:181], s[40:41]
	v_add_f64 v[10:11], v[100:101], v[10:11]
	v_fma_f64 v[100:101], v[150:151], s[26:27], -v[102:103]
	v_fma_f64 v[102:103], v[150:151], s[26:27], v[102:103]
	v_add_f64 v[4:5], v[8:9], v[4:5]
	v_fma_f64 v[8:9], v[150:151], s[28:29], -v[108:109]
	v_fma_f64 v[108:109], v[150:151], s[28:29], v[108:109]
	buffer_store_dword v0, off, s[60:63], 0 offset:236 ; 4-byte Folded Spill
	buffer_store_dword v1, off, s[60:63], 0 offset:240 ; 4-byte Folded Spill
	;; [unrolled: 1-line block ×4, first 2 shown]
	v_fma_f64 v[114:115], v[148:149], s[34:35], v[24:25]
	v_fma_f64 v[24:25], v[148:149], s[34:35], -v[24:25]
	v_add_f64 v[100:101], v[100:101], v[110:111]
	v_fma_f64 v[110:111], v[142:143], s[8:9], -v[28:29]
	v_add_f64 v[14:15], v[102:103], v[14:15]
	v_mul_f64 v[102:103], v[174:175], s[22:23]
	v_fma_f64 v[28:29], v[142:143], s[8:9], v[28:29]
	v_add_f64 v[8:9], v[8:9], v[116:117]
	v_fma_f64 v[116:117], v[142:143], s[34:35], -v[118:119]
	v_add_f64 v[22:23], v[108:109], v[22:23]
	v_mul_f64 v[108:109], v[174:175], s[48:49]
	v_fma_f64 v[118:119], v[142:143], s[34:35], v[118:119]
	v_add_f64 v[10:11], v[120:121], v[10:11]
	v_fma_f64 v[120:121], v[148:149], s[2:3], v[16:17]
	v_add_f64 v[4:5], v[26:27], v[4:5]
	v_mul_f64 v[26:27], v[172:173], s[48:49]
	v_fma_f64 v[16:17], v[148:149], s[2:3], -v[16:17]
	v_add_f64 v[106:107], v[114:115], v[106:107]
	v_add_f64 v[12:13], v[24:25], v[12:13]
	v_mul_f64 v[24:25], v[172:173], s[20:21]
	v_add_f64 v[18:19], v[110:111], v[18:19]
	v_fma_f64 v[110:111], v[142:143], s[2:3], -v[30:31]
	v_fma_f64 v[30:31], v[142:143], s[2:3], v[30:31]
	v_add_f64 v[6:7], v[28:29], v[6:7]
	v_mul_f64 v[28:29], v[174:175], s[20:21]
	v_fma_f64 v[114:115], v[140:141], s[36:37], v[102:103]
	v_add_f64 v[100:101], v[116:117], v[100:101]
	v_fma_f64 v[116:117], v[130:131], s[36:37], -v[104:105]
	v_fma_f64 v[102:103], v[140:141], s[36:37], -v[102:103]
	v_add_f64 v[14:15], v[118:119], v[14:15]
	v_mul_f64 v[118:119], v[156:157], s[24:25]
	v_fma_f64 v[104:105], v[130:131], s[36:37], v[104:105]
	v_add_f64 v[112:113], v[120:121], v[112:113]
	v_fma_f64 v[120:121], v[140:141], s[10:11], v[108:109]
	v_add_f64 v[16:17], v[16:17], v[20:21]
	v_mul_f64 v[20:21], v[170:171], s[24:25]
	v_fma_f64 v[108:109], v[140:141], s[10:11], -v[108:109]
	v_add_f64 v[8:9], v[110:111], v[8:9]
	v_fma_f64 v[110:111], v[130:131], s[10:11], -v[26:27]
	v_add_f64 v[22:23], v[30:31], v[22:23]
	v_mul_f64 v[30:31], v[156:157], s[46:47]
	v_fma_f64 v[26:27], v[130:131], s[10:11], v[26:27]
	v_add_f64 v[10:11], v[114:115], v[10:11]
	v_fma_f64 v[114:115], v[140:141], s[8:9], v[28:29]
	v_add_f64 v[18:19], v[116:117], v[18:19]
	v_fma_f64 v[116:117], v[130:131], s[8:9], -v[24:25]
	v_add_f64 v[4:5], v[102:103], v[4:5]
	v_mul_f64 v[102:103], v[170:171], s[46:47]
	v_fma_f64 v[28:29], v[140:141], s[8:9], -v[28:29]
	v_add_f64 v[6:7], v[104:105], v[6:7]
	v_mul_f64 v[104:105], v[156:157], s[30:31]
	v_fma_f64 v[24:25], v[130:131], s[8:9], v[24:25]
	v_add_f64 v[106:107], v[120:121], v[106:107]
	v_fma_f64 v[120:121], v[134:135], s[10:11], v[118:119]
	v_add_f64 v[12:13], v[108:109], v[12:13]
	v_mul_f64 v[108:109], v[170:171], s[30:31]
	v_fma_f64 v[118:119], v[134:135], s[10:11], -v[118:119]
	v_add_f64 v[100:101], v[110:111], v[100:101]
	v_fma_f64 v[110:111], v[128:129], s[10:11], -v[20:21]
	v_fma_f64 v[20:21], v[128:129], s[10:11], v[20:21]
	v_add_f64 v[14:15], v[26:27], v[14:15]
	v_mul_f64 v[26:27], v[168:169], s[38:39]
	v_add_f64 v[112:113], v[114:115], v[112:113]
	v_fma_f64 v[114:115], v[134:135], s[2:3], v[30:31]
	v_add_f64 v[8:9], v[116:117], v[8:9]
	v_fma_f64 v[30:31], v[134:135], s[2:3], -v[30:31]
	v_fma_f64 v[116:117], v[128:129], s[2:3], -v[102:103]
	v_add_f64 v[16:17], v[28:29], v[16:17]
	v_mul_f64 v[28:29], v[158:159], s[38:39]
	v_fma_f64 v[102:103], v[128:129], s[2:3], v[102:103]
	v_add_f64 v[22:23], v[24:25], v[22:23]
	v_mul_f64 v[24:25], v[168:169], s[18:19]
	v_add_f64 v[10:11], v[120:121], v[10:11]
	v_fma_f64 v[120:121], v[134:135], s[34:35], v[104:105]
	v_fma_f64 v[104:105], v[134:135], s[34:35], -v[104:105]
	v_add_f64 v[4:5], v[118:119], v[4:5]
	v_mul_f64 v[118:119], v[158:159], s[18:19]
	v_add_f64 v[18:19], v[110:111], v[18:19]
	v_fma_f64 v[110:111], v[128:129], s[34:35], -v[108:109]
	v_add_f64 v[6:7], v[20:21], v[6:7]
	v_mul_f64 v[20:21], v[168:169], s[52:53]
	v_fma_f64 v[108:109], v[128:129], s[34:35], v[108:109]
	v_add_f64 v[106:107], v[114:115], v[106:107]
	v_fma_f64 v[114:115], v[144:145], s[26:27], v[26:27]
	v_add_f64 v[12:13], v[30:31], v[12:13]
	v_add_f64 v[100:101], v[116:117], v[100:101]
	v_mul_f64 v[30:31], v[158:159], s[52:53]
	v_fma_f64 v[116:117], v[132:133], s[26:27], -v[28:29]
	v_fma_f64 v[26:27], v[144:145], s[26:27], -v[26:27]
	v_add_f64 v[14:15], v[102:103], v[14:15]
	v_mul_f64 v[102:103], v[166:167], s[42:43]
	v_fma_f64 v[28:29], v[132:133], s[26:27], v[28:29]
	v_add_f64 v[112:113], v[120:121], v[112:113]
	v_fma_f64 v[120:121], v[144:145], s[0:1], v[24:25]
	v_add_f64 v[16:17], v[104:105], v[16:17]
	v_mul_f64 v[104:105], v[164:165], s[42:43]
	v_fma_f64 v[24:25], v[144:145], s[0:1], -v[24:25]
	v_add_f64 v[8:9], v[110:111], v[8:9]
	v_fma_f64 v[110:111], v[132:133], s[0:1], -v[118:119]
	v_fma_f64 v[118:119], v[132:133], s[0:1], v[118:119]
	v_add_f64 v[22:23], v[108:109], v[22:23]
	v_mul_f64 v[108:109], v[166:167], s[22:23]
	v_add_f64 v[10:11], v[114:115], v[10:11]
	v_fma_f64 v[114:115], v[144:145], s[36:37], v[20:21]
	v_fma_f64 v[20:21], v[144:145], s[36:37], -v[20:21]
	v_add_f64 v[18:19], v[116:117], v[18:19]
	v_fma_f64 v[116:117], v[132:133], s[36:37], -v[30:31]
	v_add_f64 v[4:5], v[26:27], v[4:5]
	v_mul_f64 v[26:27], v[164:165], s[22:23]
	v_add_f64 v[6:7], v[28:29], v[6:7]
	v_mul_f64 v[28:29], v[166:167], s[18:19]
	v_fma_f64 v[30:31], v[132:133], s[36:37], v[30:31]
	v_add_f64 v[106:107], v[120:121], v[106:107]
	v_fma_f64 v[120:121], v[146:147], s[28:29], v[102:103]
	v_add_f64 v[12:13], v[24:25], v[12:13]
	v_mul_f64 v[24:25], v[164:165], s[18:19]
	v_fma_f64 v[102:103], v[146:147], s[28:29], -v[102:103]
	v_add_f64 v[100:101], v[110:111], v[100:101]
	v_fma_f64 v[110:111], v[138:139], s[28:29], -v[104:105]
	v_fma_f64 v[104:105], v[138:139], s[28:29], v[104:105]
	v_add_f64 v[14:15], v[118:119], v[14:15]
	v_fma_f64 v[118:119], v[146:147], s[36:37], v[108:109]
	v_add_f64 v[112:113], v[114:115], v[112:113]
	v_mul_f64 v[114:115], v[162:163], s[30:31]
	v_fma_f64 v[108:109], v[146:147], s[36:37], -v[108:109]
	v_add_f64 v[16:17], v[20:21], v[16:17]
	v_add_f64 v[8:9], v[116:117], v[8:9]
	v_mul_f64 v[20:21], v[154:155], s[30:31]
	v_fma_f64 v[116:117], v[138:139], s[36:37], -v[26:27]
	v_fma_f64 v[26:27], v[138:139], s[36:37], v[26:27]
	v_add_f64 v[22:23], v[30:31], v[22:23]
	v_mul_f64 v[30:31], v[162:163], s[42:43]
	v_add_f64 v[10:11], v[120:121], v[10:11]
	v_mul_f64 v[120:121], v[154:155], s[42:43]
	v_add_f64 v[4:5], v[102:103], v[4:5]
	v_fma_f64 v[102:103], v[138:139], s[0:1], -v[24:25]
	v_fma_f64 v[24:25], v[138:139], s[0:1], v[24:25]
	v_add_f64 v[18:19], v[110:111], v[18:19]
	v_fma_f64 v[110:111], v[146:147], s[0:1], v[28:29]
	v_add_f64 v[6:7], v[104:105], v[6:7]
	v_add_f64 v[104:105], v[118:119], v[106:107]
	v_fma_f64 v[28:29], v[146:147], s[0:1], -v[28:29]
	v_fma_f64 v[106:107], v[160:161], s[34:35], v[114:115]
	v_fma_f64 v[114:115], v[160:161], s[34:35], -v[114:115]
	v_add_f64 v[12:13], v[108:109], v[12:13]
	v_fma_f64 v[108:109], v[136:137], s[34:35], -v[20:21]
	v_add_f64 v[116:117], v[116:117], v[100:101]
	v_mul_f64 v[100:101], v[154:155], s[38:39]
	v_add_f64 v[14:15], v[26:27], v[14:15]
	v_fma_f64 v[20:21], v[136:137], s[34:35], v[20:21]
	v_fma_f64 v[26:27], v[160:161], s[28:29], v[30:31]
	v_fma_f64 v[30:31], v[160:161], s[28:29], -v[30:31]
	v_fma_f64 v[118:119], v[136:137], s[28:29], -v[120:121]
	v_fma_f64 v[120:121], v[136:137], s[28:29], v[120:121]
	v_add_f64 v[8:9], v[102:103], v[8:9]
	v_add_f64 v[22:23], v[24:25], v[22:23]
	v_fma_f64 v[24:25], v[160:161], s[26:27], -v[122:123]
	v_add_f64 v[112:113], v[110:111], v[112:113]
	v_add_f64 v[16:17], v[28:29], v[16:17]
	v_add_f64 v[2:3], v[106:107], v[10:11]
	v_add_f64 v[110:111], v[114:115], v[4:5]
	v_mul_f64 v[4:5], v[191:192], s[50:51]
	v_add_f64 v[0:1], v[108:109], v[18:19]
	v_mul_f64 v[18:19], v[191:192], s[42:43]
	v_fma_f64 v[28:29], v[136:137], s[26:27], v[100:101]
	v_fma_f64 v[10:11], v[136:137], s[26:27], -v[100:101]
	buffer_store_dword v0, off, s[60:63], 0 offset:252 ; 4-byte Folded Spill
	buffer_store_dword v1, off, s[60:63], 0 offset:256 ; 4-byte Folded Spill
	;; [unrolled: 1-line block ×4, first 2 shown]
	v_add_f64 v[106:107], v[26:27], v[104:105]
	v_add_f64 v[104:105], v[118:119], v[116:117]
	;; [unrolled: 1-line block ×4, first 2 shown]
	v_fma_f64 v[28:29], v[186:187], s[26:27], v[4:5]
	v_add_f64 v[114:115], v[124:125], v[112:113]
	v_add_f64 v[112:113], v[10:11], v[8:9]
	v_mul_f64 v[8:9], v[189:190], s[50:51]
	v_mul_f64 v[26:27], v[189:190], s[42:43]
	v_add_f64 v[118:119], v[30:31], v[12:13]
	v_mul_f64 v[12:13], v[189:190], s[40:41]
	v_add_f64 v[122:123], v[24:25], v[16:17]
	v_mul_f64 v[10:11], v[189:190], s[52:53]
	v_mul_f64 v[16:17], v[189:190], s[46:47]
	v_add_f64 v[108:109], v[20:21], v[6:7]
	v_mul_f64 v[6:7], v[191:192], s[52:53]
	v_mul_f64 v[20:21], v[191:192], s[46:47]
	v_fma_f64 v[14:15], v[186:187], s[28:29], v[18:19]
	v_fma_f64 v[18:19], v[186:187], s[28:29], -v[18:19]
	v_fma_f64 v[22:23], v[186:187], s[34:35], v[126:127]
	v_fma_f64 v[24:25], v[186:187], s[34:35], -v[126:127]
	v_fma_f64 v[4:5], v[186:187], s[26:27], -v[4:5]
	v_mul_f64 v[2:3], v[158:159], s[46:47]
	v_add_f64 v[0:1], v[98:99], v[28:29]
	buffer_store_dword v0, off, s[60:63], 0 offset:348 ; 4-byte Folded Spill
	buffer_store_dword v1, off, s[60:63], 0 offset:352 ; 4-byte Folded Spill
	v_fma_f64 v[189:190], v[184:185], s[26:27], -v[8:9]
	v_fma_f64 v[30:31], v[186:187], s[36:37], -v[6:7]
	v_fma_f64 v[6:7], v[186:187], s[36:37], v[6:7]
	v_fma_f64 v[191:192], v[184:185], s[36:37], v[10:11]
	v_fma_f64 v[10:11], v[184:185], s[36:37], -v[10:11]
	v_fma_f64 v[124:125], v[186:187], s[2:3], -v[20:21]
	v_fma_f64 v[20:21], v[186:187], s[2:3], v[20:21]
	v_fma_f64 v[126:127], v[184:185], s[28:29], -v[26:27]
	v_fma_f64 v[26:27], v[184:185], s[28:29], v[26:27]
	;; [unrolled: 2-line block ×3, first 2 shown]
	v_fma_f64 v[8:9], v[184:185], s[26:27], v[8:9]
	v_fma_f64 v[194:195], v[184:185], s[2:3], v[16:17]
	v_fma_f64 v[16:17], v[184:185], s[2:3], -v[16:17]
	v_add_f64 v[14:15], v[98:99], v[14:15]
	v_add_f64 v[18:19], v[98:99], v[18:19]
	;; [unrolled: 1-line block ×6, first 2 shown]
	buffer_store_dword v0, off, s[60:63], 0 offset:340 ; 4-byte Folded Spill
	buffer_store_dword v1, off, s[60:63], 0 offset:344 ; 4-byte Folded Spill
	v_add_f64 v[0:1], v[98:99], v[6:7]
	buffer_store_dword v0, off, s[60:63], 0 offset:308 ; 4-byte Folded Spill
	buffer_store_dword v1, off, s[60:63], 0 offset:312 ; 4-byte Folded Spill
	v_add_f64 v[0:1], v[96:97], v[10:11]
	;; [unrolled: 3-line block ×4, first 2 shown]
	v_add_f64 v[26:27], v[96:97], v[26:27]
	v_add_f64 v[184:185], v[96:97], v[186:187]
	;; [unrolled: 1-line block ×7, first 2 shown]
	v_mul_f64 v[96:97], v[182:183], s[52:53]
	v_add_f64 v[30:31], v[98:99], v[30:31]
	v_add_f64 v[124:125], v[98:99], v[124:125]
	buffer_store_dword v0, off, s[60:63], 0 offset:292 ; 4-byte Folded Spill
	buffer_store_dword v1, off, s[60:63], 0 offset:296 ; 4-byte Folded Spill
	v_fma_f64 v[98:99], v[152:153], s[36:37], -v[96:97]
	v_add_f64 v[98:99], v[98:99], v[124:125]
	v_mul_f64 v[124:125], v[178:179], s[52:53]
	v_fma_f64 v[194:195], v[150:151], s[36:37], v[124:125]
	v_add_f64 v[189:190], v[194:195], v[189:190]
	v_mul_f64 v[194:195], v[180:181], s[50:51]
	v_fma_f64 v[196:197], v[148:149], s[26:27], -v[194:195]
	v_add_f64 v[98:99], v[196:197], v[98:99]
	v_mul_f64 v[196:197], v[176:177], s[50:51]
	v_fma_f64 v[198:199], v[142:143], s[26:27], v[196:197]
	v_add_f64 v[189:190], v[198:199], v[189:190]
	v_mul_f64 v[198:199], v[174:175], s[40:41]
	;; [unrolled: 6-line block ×3, first 2 shown]
	v_fma_f64 v[204:205], v[134:135], s[28:29], -v[202:203]
	v_add_f64 v[98:99], v[204:205], v[98:99]
	v_mul_f64 v[204:205], v[170:171], s[42:43]
	s_mov_b32 s43, 0x3fe0d888
	s_mov_b32 s42, s20
	v_fma_f64 v[206:207], v[128:129], s[28:29], v[204:205]
	v_add_f64 v[189:190], v[206:207], v[189:190]
	v_mul_f64 v[206:207], v[168:169], s[24:25]
	v_fma_f64 v[208:209], v[144:145], s[10:11], -v[206:207]
	v_add_f64 v[98:99], v[208:209], v[98:99]
	v_mul_f64 v[208:209], v[158:159], s[24:25]
	v_fma_f64 v[212:213], v[132:133], s[10:11], v[208:209]
	v_add_f64 v[189:190], v[212:213], v[189:190]
	v_mul_f64 v[212:213], v[166:167], s[20:21]
	v_fma_f64 v[214:215], v[146:147], s[8:9], -v[212:213]
	v_add_f64 v[42:43], v[214:215], v[98:99]
	v_mul_f64 v[214:215], v[164:165], s[20:21]
	v_fma_f64 v[216:217], v[138:139], s[8:9], v[214:215]
	v_add_f64 v[0:1], v[216:217], v[189:190]
	v_mul_f64 v[216:217], v[182:183], s[40:41]
	buffer_store_dword v0, off, s[60:63], 0 offset:268 ; 4-byte Folded Spill
	buffer_store_dword v1, off, s[60:63], 0 offset:272 ; 4-byte Folded Spill
	v_fma_f64 v[218:219], v[152:153], s[34:35], -v[216:217]
	v_add_f64 v[30:31], v[218:219], v[30:31]
	v_mul_f64 v[218:219], v[178:179], s[40:41]
	v_fma_f64 v[221:222], v[150:151], s[34:35], v[218:219]
	v_add_f64 v[191:192], v[221:222], v[191:192]
	v_mul_f64 v[221:222], v[180:181], s[24:25]
	v_fma_f64 v[223:224], v[148:149], s[10:11], -v[221:222]
	v_add_f64 v[30:31], v[223:224], v[30:31]
	v_mul_f64 v[223:224], v[176:177], s[24:25]
	v_fma_f64 v[225:226], v[142:143], s[10:11], v[223:224]
	v_add_f64 v[191:192], v[225:226], v[191:192]
	v_mul_f64 v[225:226], v[174:175], s[18:19]
	;; [unrolled: 6-line block ×5, first 2 shown]
	v_fma_f64 v[239:240], v[146:147], s[26:27], -v[237:238]
	v_add_f64 v[0:1], v[239:240], v[30:31]
	v_mul_f64 v[239:240], v[164:165], s[38:39]
	buffer_store_dword v0, off, s[60:63], 0 offset:276 ; 4-byte Folded Spill
	buffer_store_dword v1, off, s[60:63], 0 offset:280 ; 4-byte Folded Spill
	v_fma_f64 v[241:242], v[138:139], s[26:27], v[239:240]
	s_mov_b32 s39, 0x3fc7851a
	s_mov_b32 s38, s18
	v_add_f64 v[0:1], v[241:242], v[191:192]
	v_mul_f64 v[241:242], v[182:183], s[24:25]
	buffer_store_dword v0, off, s[60:63], 0 offset:284 ; 4-byte Folded Spill
	buffer_store_dword v1, off, s[60:63], 0 offset:288 ; 4-byte Folded Spill
	v_fma_f64 v[243:244], v[152:153], s[10:11], -v[241:242]
	v_add_f64 v[4:5], v[243:244], v[4:5]
	v_mul_f64 v[243:244], v[180:181], s[38:39]
	v_fma_f64 v[245:246], v[148:149], s[0:1], -v[243:244]
	v_add_f64 v[4:5], v[245:246], v[4:5]
	v_mul_f64 v[245:246], v[178:179], s[24:25]
	v_fma_f64 v[247:248], v[150:151], s[10:11], v[245:246]
	v_add_f64 v[8:9], v[247:248], v[8:9]
	v_mul_f64 v[247:248], v[174:175], s[44:45]
	v_fma_f64 v[249:250], v[140:141], s[28:29], -v[247:248]
	v_add_f64 v[4:5], v[249:250], v[4:5]
	v_mul_f64 v[249:250], v[176:177], s[38:39]
	v_fma_f64 v[251:252], v[142:143], s[0:1], v[249:250]
	;; [unrolled: 6-line block ×3, first 2 shown]
	v_add_f64 v[8:9], v[98:99], v[8:9]
	v_mul_f64 v[98:99], v[168:169], s[46:47]
	v_fma_f64 v[188:189], v[144:145], s[2:3], -v[98:99]
	v_fma_f64 v[98:99], v[144:145], s[2:3], v[98:99]
	v_add_f64 v[4:5], v[188:189], v[4:5]
	v_mul_f64 v[188:189], v[170:171], s[22:23]
	v_fma_f64 v[0:1], v[128:129], s[36:37], v[188:189]
	v_add_f64 v[0:1], v[0:1], v[8:9]
	v_fma_f64 v[8:9], v[132:133], s[2:3], v[2:3]
	v_fma_f64 v[2:3], v[132:133], s[2:3], -v[2:3]
	v_add_f64 v[0:1], v[8:9], v[0:1]
	v_mul_f64 v[8:9], v[166:167], s[40:41]
	v_fma_f64 v[30:31], v[146:147], s[34:35], -v[8:9]
	v_fma_f64 v[8:9], v[146:147], s[34:35], v[8:9]
	v_add_f64 v[4:5], v[30:31], v[4:5]
	buffer_store_dword v4, off, s[60:63], 0 offset:324 ; 4-byte Folded Spill
	buffer_store_dword v5, off, s[60:63], 0 offset:328 ; 4-byte Folded Spill
	v_mul_f64 v[4:5], v[164:165], s[40:41]
	v_fma_f64 v[190:191], v[138:139], s[34:35], v[4:5]
	v_fma_f64 v[4:5], v[138:139], s[34:35], -v[4:5]
	v_add_f64 v[0:1], v[190:191], v[0:1]
	v_mul_f64 v[190:191], v[182:183], s[18:19]
	buffer_store_dword v0, off, s[60:63], 0 offset:332 ; 4-byte Folded Spill
	buffer_store_dword v1, off, s[60:63], 0 offset:336 ; 4-byte Folded Spill
	v_fma_f64 v[16:17], v[152:153], s[0:1], -v[190:191]
	v_add_f64 v[16:17], v[16:17], v[24:25]
	v_mul_f64 v[24:25], v[180:181], s[44:45]
	v_fma_f64 v[20:21], v[148:149], s[28:29], -v[24:25]
	v_add_f64 v[16:17], v[20:21], v[16:17]
	v_mul_f64 v[20:21], v[178:179], s[18:19]
	v_mul_f64 v[178:179], v[178:179], s[42:43]
	v_fma_f64 v[6:7], v[150:151], s[0:1], v[20:21]
	v_add_f64 v[6:7], v[6:7], v[12:13]
	v_mul_f64 v[12:13], v[174:175], s[16:17]
	v_mul_f64 v[174:175], v[174:175], s[50:51]
	v_fma_f64 v[10:11], v[140:141], s[2:3], -v[12:13]
	v_fma_f64 v[12:13], v[140:141], s[2:3], v[12:13]
	v_add_f64 v[10:11], v[10:11], v[16:17]
	v_mul_f64 v[16:17], v[176:177], s[44:45]
	v_fma_f64 v[30:31], v[142:143], s[28:29], v[16:17]
	v_fma_f64 v[16:17], v[142:143], s[28:29], -v[16:17]
	v_add_f64 v[6:7], v[30:31], v[6:7]
	v_mul_f64 v[30:31], v[156:157], s[50:51]
	v_mul_f64 v[156:157], v[156:157], s[18:19]
	v_fma_f64 v[0:1], v[134:135], s[26:27], -v[30:31]
	v_add_f64 v[0:1], v[0:1], v[10:11]
	v_mul_f64 v[10:11], v[172:173], s[16:17]
	v_mul_f64 v[172:173], v[172:173], s[50:51]
	v_fma_f64 v[186:187], v[130:131], s[2:3], v[10:11]
	v_fma_f64 v[10:11], v[130:131], s[2:3], -v[10:11]
	v_add_f64 v[6:7], v[186:187], v[6:7]
	v_mul_f64 v[186:187], v[168:169], s[20:21]
	v_mul_f64 v[168:169], v[168:169], s[30:31]
	v_fma_f64 v[28:29], v[144:145], s[8:9], -v[186:187]
	v_add_f64 v[0:1], v[28:29], v[0:1]
	v_mul_f64 v[28:29], v[170:171], s[50:51]
	v_mul_f64 v[170:171], v[170:171], s[18:19]
	v_fma_f64 v[192:193], v[128:129], s[26:27], v[28:29]
	v_add_f64 v[6:7], v[192:193], v[6:7]
	v_mul_f64 v[192:193], v[166:167], s[48:49]
	v_mul_f64 v[166:167], v[166:167], s[46:47]
	v_fma_f64 v[100:101], v[146:147], s[10:11], -v[192:193]
	v_add_f64 v[0:1], v[100:101], v[0:1]
	v_mul_f64 v[100:101], v[158:159], s[20:21]
	v_mul_f64 v[158:159], v[158:159], s[30:31]
	v_fma_f64 v[102:103], v[132:133], s[8:9], v[100:101]
	v_add_f64 v[6:7], v[102:103], v[6:7]
	v_mul_f64 v[102:103], v[164:165], s[48:49]
	v_mul_f64 v[164:165], v[164:165], s[46:47]
	v_fma_f64 v[32:33], v[138:139], s[10:11], v[102:103]
	v_fma_f64 v[102:103], v[138:139], s[10:11], -v[102:103]
	v_add_f64 v[32:33], v[32:33], v[6:7]
	v_mul_f64 v[6:7], v[182:183], s[42:43]
	v_fma_f64 v[34:35], v[152:153], s[8:9], -v[6:7]
	v_fma_f64 v[6:7], v[152:153], s[8:9], v[6:7]
	v_add_f64 v[18:19], v[34:35], v[18:19]
	v_mul_f64 v[34:35], v[180:181], s[22:23]
	v_add_f64 v[6:7], v[6:7], v[14:15]
	v_fma_f64 v[180:181], v[148:149], s[36:37], -v[34:35]
	v_fma_f64 v[14:15], v[148:149], s[36:37], v[34:35]
	v_fma_f64 v[34:35], v[140:141], s[26:27], v[174:175]
	v_add_f64 v[18:19], v[180:181], v[18:19]
	v_fma_f64 v[180:181], v[140:141], s[26:27], -v[174:175]
	v_add_f64 v[6:7], v[14:15], v[6:7]
	v_fma_f64 v[14:15], v[150:151], s[8:9], -v[178:179]
	;; [unrolled: 2-line block ×3, first 2 shown]
	v_add_f64 v[14:15], v[14:15], v[126:127]
	v_add_f64 v[6:7], v[34:35], v[6:7]
	v_mul_f64 v[126:127], v[162:163], s[16:17]
	v_add_f64 v[18:19], v[180:181], v[18:19]
	v_fma_f64 v[180:181], v[144:145], s[34:35], -v[168:169]
	v_add_f64 v[18:19], v[180:181], v[18:19]
	v_fma_f64 v[180:181], v[150:151], s[8:9], v[178:179]
	v_add_f64 v[26:27], v[180:181], v[26:27]
	v_fma_f64 v[180:181], v[146:147], s[2:3], -v[166:167]
	v_add_f64 v[180:181], v[180:181], v[18:19]
	v_mul_f64 v[18:19], v[176:177], s[22:23]
	v_fma_f64 v[176:177], v[142:143], s[36:37], v[18:19]
	v_fma_f64 v[18:19], v[142:143], s[36:37], -v[18:19]
	v_add_f64 v[26:27], v[176:177], v[26:27]
	v_add_f64 v[14:15], v[18:19], v[14:15]
	v_fma_f64 v[18:19], v[134:135], s[0:1], v[156:157]
	v_fma_f64 v[176:177], v[130:131], s[26:27], v[172:173]
	v_add_f64 v[6:7], v[18:19], v[6:7]
	v_fma_f64 v[18:19], v[130:131], s[26:27], -v[172:173]
	v_add_f64 v[26:27], v[176:177], v[26:27]
	v_fma_f64 v[176:177], v[128:129], s[0:1], v[170:171]
	v_add_f64 v[14:15], v[18:19], v[14:15]
	v_fma_f64 v[18:19], v[144:145], s[34:35], v[168:169]
	;; [unrolled: 2-line block ×3, first 2 shown]
	v_add_f64 v[6:7], v[18:19], v[6:7]
	v_fma_f64 v[18:19], v[128:129], s[0:1], -v[170:171]
	v_add_f64 v[26:27], v[176:177], v[26:27]
	v_fma_f64 v[176:177], v[138:139], s[2:3], v[164:165]
	v_add_f64 v[14:15], v[18:19], v[14:15]
	v_fma_f64 v[18:19], v[146:147], s[2:3], v[166:167]
	v_add_f64 v[26:27], v[176:177], v[26:27]
	v_add_f64 v[34:35], v[18:19], v[6:7]
	v_fma_f64 v[6:7], v[132:133], s[34:35], -v[158:159]
	v_fma_f64 v[18:19], v[148:149], s[28:29], v[24:25]
	v_fma_f64 v[24:25], v[140:141], s[28:29], v[247:248]
	v_add_f64 v[6:7], v[6:7], v[14:15]
	v_fma_f64 v[14:15], v[138:139], s[2:3], -v[164:165]
	v_add_f64 v[156:157], v[14:15], v[6:7]
	v_fma_f64 v[14:15], v[150:151], s[0:1], -v[20:21]
	v_fma_f64 v[6:7], v[152:153], s[0:1], v[190:191]
	v_fma_f64 v[20:21], v[150:151], s[34:35], -v[218:219]
	v_add_f64 v[14:15], v[14:15], v[184:185]
	v_add_f64 v[6:7], v[6:7], v[22:23]
	v_fma_f64 v[22:23], v[150:151], s[36:37], -v[124:125]
	v_fma_f64 v[124:125], v[128:129], s[28:29], -v[204:205]
	v_add_f64 v[14:15], v[16:17], v[14:15]
	v_add_f64 v[6:7], v[18:19], v[6:7]
	v_fma_f64 v[18:19], v[152:153], s[36:37], v[96:97]
	v_fma_f64 v[96:97], v[142:143], s[26:27], -v[196:197]
	v_add_f64 v[10:11], v[10:11], v[14:15]
	s_clause 0x3
	buffer_load_dword v14, off, s[60:63], 0 offset:348
	buffer_load_dword v15, off, s[60:63], 0 offset:352
	;; [unrolled: 1-line block ×4, first 2 shown]
	v_add_f64 v[6:7], v[12:13], v[6:7]
	v_fma_f64 v[12:13], v[134:135], s[26:27], v[30:31]
	v_add_f64 v[6:7], v[12:13], v[6:7]
	v_fma_f64 v[12:13], v[128:129], s[26:27], -v[28:29]
	v_fma_f64 v[28:29], v[148:149], s[26:27], v[194:195]
	v_add_f64 v[10:11], v[12:13], v[10:11]
	v_fma_f64 v[12:13], v[144:145], s[8:9], v[186:187]
	v_add_f64 v[6:7], v[12:13], v[6:7]
	v_fma_f64 v[12:13], v[132:133], s[8:9], -v[100:101]
	v_add_f64 v[10:11], v[12:13], v[10:11]
	v_fma_f64 v[12:13], v[152:153], s[10:11], v[241:242]
	v_add_f64 v[102:103], v[102:103], v[10:11]
	s_waitcnt vmcnt(2)
	v_add_f64 v[12:13], v[12:13], v[14:15]
	v_fma_f64 v[14:15], v[150:151], s[10:11], -v[245:246]
	v_fma_f64 v[150:151], v[138:139], s[26:27], -v[239:240]
	;; [unrolled: 1-line block ×3, first 2 shown]
	s_waitcnt vmcnt(0)
	v_add_f64 v[14:15], v[14:15], v[16:17]
	v_fma_f64 v[16:17], v[148:149], s[0:1], v[243:244]
	v_add_f64 v[12:13], v[16:17], v[12:13]
	v_fma_f64 v[16:17], v[142:143], s[0:1], -v[249:250]
	v_add_f64 v[12:13], v[24:25], v[12:13]
	s_clause 0x1
	buffer_load_dword v24, off, s[60:63], 0 offset:308
	buffer_load_dword v25, off, s[60:63], 0 offset:312
	v_add_f64 v[14:15], v[16:17], v[14:15]
	v_fma_f64 v[16:17], v[152:153], s[34:35], v[216:217]
	s_waitcnt vmcnt(0)
	v_add_f64 v[16:17], v[16:17], v[24:25]
	s_clause 0x5
	buffer_load_dword v24, off, s[60:63], 0 offset:316
	buffer_load_dword v25, off, s[60:63], 0 offset:320
	;; [unrolled: 1-line block ×6, first 2 shown]
	s_waitcnt vmcnt(4)
	v_add_f64 v[20:21], v[20:21], v[24:25]
	s_waitcnt vmcnt(2)
	v_add_f64 v[18:19], v[18:19], v[30:31]
	v_fma_f64 v[30:31], v[142:143], s[10:11], -v[223:224]
	s_waitcnt vmcnt(0)
	v_add_f64 v[22:23], v[22:23], v[100:101]
	v_fma_f64 v[100:101], v[130:131], s[28:29], -v[254:255]
	v_fma_f64 v[24:25], v[148:149], s[10:11], v[221:222]
	v_mul_f64 v[142:143], v[162:163], s[24:25]
	v_fma_f64 v[148:149], v[146:147], s[26:27], v[237:238]
	v_add_f64 v[18:19], v[28:29], v[18:19]
	v_add_f64 v[20:21], v[30:31], v[20:21]
	v_fma_f64 v[30:31], v[140:141], s[34:35], v[198:199]
	v_add_f64 v[14:15], v[100:101], v[14:15]
	v_add_f64 v[22:23], v[96:97], v[22:23]
	v_fma_f64 v[96:97], v[134:135], s[36:37], v[251:252]
	v_fma_f64 v[28:29], v[130:131], s[0:1], -v[227:228]
	v_fma_f64 v[100:101], v[130:131], s[34:35], -v[200:201]
	v_add_f64 v[16:17], v[24:25], v[16:17]
	v_fma_f64 v[24:25], v[140:141], s[0:1], v[225:226]
	v_mul_f64 v[130:131], v[162:163], s[20:21]
	v_fma_f64 v[140:141], v[146:147], s[10:11], v[192:193]
	v_fma_f64 v[146:147], v[146:147], s[8:9], v[212:213]
	v_mov_b32_e32 v193, v253
	v_mov_b32_e32 v253, v37
	v_add_f64 v[18:19], v[30:31], v[18:19]
	v_fma_f64 v[30:31], v[128:129], s[36:37], -v[188:189]
	v_mov_b32_e32 v188, v220
	v_add_f64 v[12:13], v[96:97], v[12:13]
	v_add_f64 v[20:21], v[28:29], v[20:21]
	v_fma_f64 v[96:97], v[128:129], s[8:9], -v[231:232]
	v_add_f64 v[22:23], v[100:101], v[22:23]
	v_fma_f64 v[28:29], v[134:135], s[28:29], v[202:203]
	v_add_f64 v[16:17], v[24:25], v[16:17]
	v_fma_f64 v[24:25], v[134:135], s[8:9], v[229:230]
	v_fma_f64 v[128:129], v[144:145], s[10:11], v[206:207]
	v_mul_f64 v[100:101], v[154:155], s[18:19]
	v_mul_f64 v[134:135], v[162:163], s[22:23]
	v_add_f64 v[140:141], v[140:141], v[6:7]
	v_fma_f64 v[170:171], v[160:161], s[8:9], v[130:131]
	v_mov_b32_e32 v220, v36
	v_mov_b32_e32 v206, v38
	;; [unrolled: 1-line block ×3, first 2 shown]
	v_add_f64 v[14:15], v[30:31], v[14:15]
	v_mul_f64 v[30:31], v[162:163], s[18:19]
	v_add_f64 v[12:13], v[98:99], v[12:13]
	v_mul_f64 v[98:99], v[154:155], s[16:17]
	v_add_f64 v[20:21], v[96:97], v[20:21]
	v_fma_f64 v[96:97], v[132:133], s[28:29], -v[235:236]
	v_fma_f64 v[132:133], v[132:133], s[10:11], -v[208:209]
	v_add_f64 v[22:23], v[124:125], v[22:23]
	v_add_f64 v[18:19], v[28:29], v[18:19]
	;; [unrolled: 1-line block ×3, first 2 shown]
	v_fma_f64 v[24:25], v[144:145], s[28:29], v[233:234]
	v_mul_f64 v[28:29], v[154:155], s[20:21]
	v_mul_f64 v[124:125], v[154:155], s[22:23]
	;; [unrolled: 1-line block ×3, first 2 shown]
	v_fma_f64 v[162:163], v[160:161], s[10:11], -v[142:143]
	v_fma_f64 v[142:143], v[160:161], s[10:11], v[142:143]
	v_mov_b32_e32 v208, v40
	v_add_f64 v[2:3], v[2:3], v[14:15]
	v_fma_f64 v[14:15], v[160:161], s[0:1], -v[30:31]
	v_add_f64 v[164:165], v[8:9], v[12:13]
	v_fma_f64 v[172:173], v[136:137], s[2:3], -v[98:99]
	v_fma_f64 v[152:153], v[136:137], s[2:3], v[98:99]
	v_add_f64 v[20:21], v[96:97], v[20:21]
	v_fma_f64 v[96:97], v[160:161], s[2:3], -v[126:127]
	v_add_f64 v[22:23], v[132:133], v[22:23]
	v_add_f64 v[18:19], v[128:129], v[18:19]
	v_fma_f64 v[128:129], v[160:161], s[8:9], -v[130:131]
	v_add_f64 v[16:17], v[24:25], v[16:17]
	v_fma_f64 v[24:25], v[136:137], s[0:1], v[100:101]
	v_fma_f64 v[132:133], v[160:161], s[36:37], -v[134:135]
	v_fma_f64 v[134:135], v[160:161], s[36:37], v[134:135]
	v_fma_f64 v[100:101], v[136:137], s[0:1], -v[100:101]
	v_fma_f64 v[154:155], v[136:137], s[8:9], v[28:29]
	v_fma_f64 v[158:159], v[136:137], s[36:37], v[124:125]
	v_fma_f64 v[166:167], v[136:137], s[10:11], v[144:145]
	v_fma_f64 v[144:145], v[136:137], s[10:11], -v[144:145]
	v_fma_f64 v[168:169], v[136:137], s[36:37], -v[124:125]
	;; [unrolled: 1-line block ×3, first 2 shown]
	v_add_f64 v[98:99], v[162:163], v[180:181]
	v_add_f64 v[2:3], v[4:5], v[2:3]
	s_clause 0x3
	buffer_load_dword v4, off, s[60:63], 0 offset:268
	buffer_load_dword v5, off, s[60:63], 0 offset:272
	;; [unrolled: 1-line block ×4, first 2 shown]
	v_add_f64 v[6:7], v[14:15], v[42:43]
	v_fma_f64 v[30:31], v[160:161], s[0:1], v[30:31]
	v_add_f64 v[20:21], v[150:151], v[20:21]
	v_fma_f64 v[150:151], v[160:161], s[2:3], v[126:127]
	v_add_f64 v[22:23], v[138:139], v[22:23]
	v_add_f64 v[146:147], v[146:147], v[18:19]
	;; [unrolled: 1-line block ×6, first 2 shown]
	v_mul_lo_u16 v0, v220, 17
	v_add_f64 v[134:135], v[170:171], v[164:165]
	v_add_f64 v[16:17], v[158:159], v[32:33]
	;; [unrolled: 1-line block ×3, first 2 shown]
	v_and_b32_e32 v0, 0xffff, v0
	v_add_f64 v[132:133], v[28:29], v[2:3]
	v_lshl_add_u32 v0, v0, 4, v41
	v_add_f64 v[136:137], v[172:173], v[20:21]
	v_add_f64 v[140:141], v[100:101], v[22:23]
	;; [unrolled: 1-line block ×4, first 2 shown]
	s_waitcnt vmcnt(2)
	v_add_f64 v[4:5], v[24:25], v[4:5]
	s_waitcnt vmcnt(0)
	v_add_f64 v[10:11], v[96:97], v[8:9]
	s_clause 0x3
	buffer_load_dword v8, off, s[60:63], 0 offset:284
	buffer_load_dword v9, off, s[60:63], 0 offset:288
	;; [unrolled: 1-line block ×4, first 2 shown]
	v_add_f64 v[96:97], v[166:167], v[26:27]
	s_waitcnt vmcnt(2)
	v_add_f64 v[8:9], v[152:153], v[8:9]
	s_waitcnt vmcnt(0)
	v_add_f64 v[14:15], v[128:129], v[12:13]
	s_clause 0x5
	buffer_load_dword v12, off, s[60:63], 0 offset:332
	buffer_load_dword v13, off, s[60:63], 0 offset:336
	;; [unrolled: 1-line block ×6, first 2 shown]
	v_add_f64 v[128:129], v[168:169], v[102:103]
	s_waitcnt vmcnt(4)
	v_add_f64 v[12:13], v[154:155], v[12:13]
	s_waitcnt vmcnt(0)
	ds_write_b128 v0, v[20:23]
	ds_write_b128 v0, v[4:7] offset:16
	ds_write_b128 v0, v[8:11] offset:32
	;; [unrolled: 1-line block ×8, first 2 shown]
	s_clause 0x3
	buffer_load_dword v1, off, s[60:63], 0 offset:252
	buffer_load_dword v2, off, s[60:63], 0 offset:256
	;; [unrolled: 1-line block ×4, first 2 shown]
	s_waitcnt vmcnt(0)
	ds_write_b128 v0, v[1:4] offset:144
	ds_write_b128 v0, v[104:107] offset:160
	;; [unrolled: 1-line block ×8, first 2 shown]
.LBB0_13:
	s_or_b32 exec_lo, exec_lo, s33
	s_waitcnt lgkmcnt(0)
	s_waitcnt_vscnt null, 0x0
	s_barrier
	buffer_gl0_inv
	ds_read_b128 v[0:3], v211 offset:4352
	ds_read_b128 v[4:7], v211 offset:4896
	;; [unrolled: 1-line block ×8, first 2 shown]
	s_clause 0xb
	buffer_load_dword v40, off, s[60:63], 0 offset:16
	buffer_load_dword v41, off, s[60:63], 0 offset:20
	;; [unrolled: 1-line block ×4, first 2 shown]
	buffer_load_dword v36, off, s[60:63], 0
	buffer_load_dword v37, off, s[60:63], 0 offset:4
	buffer_load_dword v38, off, s[60:63], 0 offset:8
	;; [unrolled: 1-line block ×7, first 2 shown]
	s_mov_b32 s0, 0x667f3bcd
	s_mov_b32 s1, 0xbfe6a09e
	;; [unrolled: 1-line block ×12, first 2 shown]
	s_waitcnt vmcnt(8) lgkmcnt(7)
	v_mul_f64 v[20:21], v[42:43], v[2:3]
	v_mul_f64 v[22:23], v[42:43], v[0:1]
	s_waitcnt vmcnt(0) lgkmcnt(5)
	v_mul_f64 v[28:29], v[158:159], v[10:11]
	v_mul_f64 v[30:31], v[158:159], v[8:9]
	s_clause 0x3
	buffer_load_dword v158, off, s[60:63], 0 offset:80
	buffer_load_dword v159, off, s[60:63], 0 offset:84
	;; [unrolled: 1-line block ×4, first 2 shown]
	v_mul_f64 v[24:25], v[38:39], v[6:7]
	v_mul_f64 v[26:27], v[38:39], v[4:5]
	v_fma_f64 v[20:21], v[40:41], v[0:1], v[20:21]
	v_fma_f64 v[22:23], v[40:41], v[2:3], -v[22:23]
	v_fma_f64 v[28:29], v[156:157], v[8:9], v[28:29]
	v_fma_f64 v[30:31], v[156:157], v[10:11], -v[30:31]
	;; [unrolled: 2-line block ×3, first 2 shown]
	s_waitcnt vmcnt(0) lgkmcnt(4)
	v_mul_f64 v[32:33], v[160:161], v[14:15]
	v_mul_f64 v[34:35], v[160:161], v[12:13]
	s_clause 0x3
	buffer_load_dword v160, off, s[60:63], 0 offset:96
	buffer_load_dword v161, off, s[60:63], 0 offset:100
	buffer_load_dword v162, off, s[60:63], 0 offset:104
	buffer_load_dword v163, off, s[60:63], 0 offset:108
	v_fma_f64 v[32:33], v[158:159], v[12:13], v[32:33]
	v_fma_f64 v[34:35], v[158:159], v[14:15], -v[34:35]
	s_waitcnt vmcnt(0) lgkmcnt(3)
	v_mul_f64 v[132:133], v[162:163], v[18:19]
	v_mul_f64 v[134:135], v[162:163], v[16:17]
	s_clause 0xb
	buffer_load_dword v162, off, s[60:63], 0 offset:112
	buffer_load_dword v163, off, s[60:63], 0 offset:116
	;; [unrolled: 1-line block ×12, first 2 shown]
	ds_read_b128 v[108:111], v211
	ds_read_b128 v[112:115], v211 offset:544
	ds_read_b128 v[116:119], v211 offset:1088
	;; [unrolled: 1-line block ×7, first 2 shown]
	s_waitcnt vmcnt(0) lgkmcnt(0)
	s_barrier
	buffer_gl0_inv
	buffer_load_dword v36, off, s[60:63], 0 offset:160 ; 4-byte Folded Reload
	v_add_f64 v[8:9], v[108:109], -v[20:21]
	v_add_f64 v[10:11], v[110:111], -v[22:23]
	;; [unrolled: 1-line block ×6, first 2 shown]
	v_fma_f64 v[132:133], v[160:161], v[16:17], v[132:133]
	v_fma_f64 v[134:135], v[160:161], v[18:19], -v[134:135]
	v_add_f64 v[16:17], v[116:117], -v[28:29]
	v_add_f64 v[18:19], v[118:119], -v[30:31]
	;; [unrolled: 1-line block ×4, first 2 shown]
	v_mul_f64 v[136:137], v[164:165], v[98:99]
	v_mul_f64 v[140:141], v[154:155], v[102:103]
	;; [unrolled: 1-line block ×6, first 2 shown]
	v_fma_f64 v[96:97], v[162:163], v[96:97], v[136:137]
	v_fma_f64 v[100:101], v[152:153], v[100:101], v[140:141]
	v_fma_f64 v[102:103], v[152:153], v[102:103], -v[142:143]
	v_fma_f64 v[98:99], v[162:163], v[98:99], -v[138:139]
	v_fma_f64 v[104:105], v[148:149], v[104:105], v[144:145]
	v_fma_f64 v[106:107], v[148:149], v[106:107], -v[146:147]
	v_add_f64 v[28:29], v[128:129], -v[96:97]
	v_add_f64 v[32:33], v[0:1], -v[100:101]
	;; [unrolled: 1-line block ×3, first 2 shown]
	v_fma_f64 v[100:101], v[108:109], 2.0, -v[8:9]
	v_fma_f64 v[102:103], v[110:111], 2.0, -v[10:11]
	v_add_f64 v[30:31], v[130:131], -v[98:99]
	v_add_f64 v[96:97], v[4:5], -v[104:105]
	;; [unrolled: 1-line block ×3, first 2 shown]
	v_fma_f64 v[104:105], v[112:113], 2.0, -v[12:13]
	s_waitcnt vmcnt(0)
	ds_write_b128 v36, v[8:11] offset:272
	ds_write_b128 v36, v[100:103]
	buffer_load_dword v8, off, s[60:63], 0 offset:192 ; 4-byte Folded Reload
	v_fma_f64 v[106:107], v[114:115], 2.0, -v[14:15]
	v_fma_f64 v[108:109], v[116:117], 2.0, -v[16:17]
	;; [unrolled: 1-line block ×13, first 2 shown]
	s_waitcnt vmcnt(0)
	ds_write_b128 v8, v[104:107]
	ds_write_b128 v8, v[12:15] offset:272
	buffer_load_dword v8, off, s[60:63], 0 offset:184 ; 4-byte Folded Reload
	s_waitcnt vmcnt(0)
	ds_write_b128 v8, v[108:111]
	ds_write_b128 v8, v[16:19] offset:272
	buffer_load_dword v8, off, s[60:63], 0 offset:180 ; 4-byte Folded Reload
	;; [unrolled: 4-line block ×6, first 2 shown]
	s_waitcnt vmcnt(0)
	ds_write_b128 v0, v[4:7]
	ds_write_b128 v0, v[96:99] offset:272
	s_waitcnt lgkmcnt(0)
	s_barrier
	buffer_gl0_inv
	ds_read_b128 v[0:3], v211 offset:544
	ds_read_b128 v[4:7], v211 offset:1088
	;; [unrolled: 1-line block ×5, first 2 shown]
	ds_read_b128 v[20:23], v211
	ds_read_b128 v[24:27], v211 offset:2720
	ds_read_b128 v[28:31], v211 offset:3808
	;; [unrolled: 1-line block ×10, first 2 shown]
	s_clause 0x7
	buffer_load_dword v36, off, s[60:63], 0 offset:128
	buffer_load_dword v37, off, s[60:63], 0 offset:132
	buffer_load_dword v38, off, s[60:63], 0 offset:136
	buffer_load_dword v39, off, s[60:63], 0 offset:140
	buffer_load_dword v40, off, s[60:63], 0 offset:144
	buffer_load_dword v41, off, s[60:63], 0 offset:148
	buffer_load_dword v42, off, s[60:63], 0 offset:152
	buffer_load_dword v43, off, s[60:63], 0 offset:156
	s_waitcnt lgkmcnt(15)
	v_mul_f64 v[124:125], v[50:51], v[2:3]
	v_mul_f64 v[50:51], v[50:51], v[0:1]
	s_waitcnt lgkmcnt(14)
	v_mul_f64 v[126:127], v[46:47], v[6:7]
	v_mul_f64 v[46:47], v[46:47], v[4:5]
	;; [unrolled: 3-line block ×10, first 2 shown]
	v_fma_f64 v[0:1], v[48:49], v[0:1], v[124:125]
	v_fma_f64 v[2:3], v[48:49], v[2:3], -v[50:51]
	v_fma_f64 v[4:5], v[44:45], v[4:5], v[126:127]
	v_fma_f64 v[6:7], v[44:45], v[6:7], -v[46:47]
	v_mul_f64 v[44:45], v[54:55], v[30:31]
	v_mul_f64 v[46:47], v[54:55], v[28:29]
	s_waitcnt lgkmcnt(0)
	v_mul_f64 v[48:49], v[86:87], v[122:123]
	v_mul_f64 v[50:51], v[86:87], v[120:121]
	v_fma_f64 v[16:17], v[64:65], v[16:17], v[132:133]
	v_fma_f64 v[18:19], v[64:65], v[18:19], -v[66:67]
	v_fma_f64 v[32:33], v[60:61], v[32:33], v[136:137]
	v_fma_f64 v[34:35], v[60:61], v[34:35], -v[62:63]
	;; [unrolled: 2-line block ×5, first 2 shown]
	v_fma_f64 v[66:67], v[92:93], v[116:117], v[146:147]
	v_fma_f64 v[24:25], v[56:57], v[24:25], v[134:135]
	v_fma_f64 v[26:27], v[56:57], v[26:27], -v[58:59]
	v_fma_f64 v[56:57], v[88:89], v[112:113], v[144:145]
	v_fma_f64 v[58:59], v[88:89], v[114:115], -v[90:91]
	;; [unrolled: 2-line block ×3, first 2 shown]
	v_add_f64 v[32:33], v[20:21], -v[32:33]
	v_add_f64 v[34:35], v[22:23], -v[34:35]
	v_add_f64 v[52:53], v[16:17], -v[66:67]
	v_add_f64 v[56:57], v[24:25], -v[56:57]
	v_add_f64 v[58:59], v[26:27], -v[58:59]
	v_fma_f64 v[20:21], v[20:21], 2.0, -v[32:33]
	v_fma_f64 v[22:23], v[22:23], 2.0, -v[34:35]
	;; [unrolled: 1-line block ×5, first 2 shown]
	s_waitcnt vmcnt(4)
	v_mul_f64 v[128:129], v[38:39], v[10:11]
	s_waitcnt vmcnt(0)
	v_mul_f64 v[130:131], v[42:43], v[14:15]
	v_mul_f64 v[42:43], v[42:43], v[12:13]
	;; [unrolled: 1-line block ×3, first 2 shown]
	v_fma_f64 v[8:9], v[36:37], v[8:9], v[128:129]
	v_fma_f64 v[12:13], v[40:41], v[12:13], v[130:131]
	v_fma_f64 v[14:15], v[40:41], v[14:15], -v[42:43]
	v_mul_f64 v[40:41], v[70:71], v[106:107]
	v_mul_f64 v[42:43], v[70:71], v[104:105]
	v_fma_f64 v[70:71], v[92:93], v[118:119], -v[94:95]
	v_fma_f64 v[10:11], v[36:37], v[10:11], -v[38:39]
	v_add_f64 v[44:45], v[12:13], -v[54:55]
	v_add_f64 v[46:47], v[14:15], -v[60:61]
	v_fma_f64 v[36:37], v[68:69], v[104:105], v[40:41]
	v_fma_f64 v[38:39], v[68:69], v[106:107], -v[42:43]
	v_fma_f64 v[40:41], v[84:85], v[120:121], v[48:49]
	v_fma_f64 v[42:43], v[84:85], v[122:123], -v[50:51]
	v_add_f64 v[48:49], v[4:5], -v[62:63]
	v_add_f64 v[50:51], v[6:7], -v[64:65]
	;; [unrolled: 1-line block ×5, first 2 shown]
	v_fma_f64 v[12:13], v[12:13], 2.0, -v[44:45]
	v_fma_f64 v[14:15], v[14:15], 2.0, -v[46:47]
	v_add_f64 v[36:37], v[8:9], -v[36:37]
	v_add_f64 v[38:39], v[10:11], -v[38:39]
	;; [unrolled: 1-line block ×4, first 2 shown]
	v_fma_f64 v[4:5], v[4:5], 2.0, -v[48:49]
	v_fma_f64 v[6:7], v[6:7], 2.0, -v[50:51]
	;; [unrolled: 1-line block ×5, first 2 shown]
	v_add_f64 v[46:47], v[32:33], v[46:47]
	v_add_f64 v[44:45], v[34:35], -v[44:45]
	v_add_f64 v[54:55], v[48:49], v[54:55]
	v_add_f64 v[52:53], v[50:51], -v[52:53]
	v_add_f64 v[56:57], v[62:63], -v[56:57]
	v_add_f64 v[58:59], v[60:61], v[58:59]
	v_add_f64 v[12:13], v[20:21], -v[12:13]
	v_add_f64 v[14:15], v[22:23], -v[14:15]
	v_fma_f64 v[8:9], v[8:9], 2.0, -v[36:37]
	v_fma_f64 v[10:11], v[10:11], 2.0, -v[38:39]
	;; [unrolled: 1-line block ×4, first 2 shown]
	v_add_f64 v[40:41], v[38:39], -v[40:41]
	v_add_f64 v[42:43], v[36:37], v[42:43]
	v_add_f64 v[16:17], v[4:5], -v[16:17]
	v_add_f64 v[18:19], v[6:7], -v[18:19]
	;; [unrolled: 1-line block ×3, first 2 shown]
	v_fma_f64 v[32:33], v[32:33], 2.0, -v[46:47]
	v_fma_f64 v[34:35], v[34:35], 2.0, -v[44:45]
	;; [unrolled: 1-line block ×4, first 2 shown]
	v_add_f64 v[26:27], v[2:3], -v[26:27]
	v_fma_f64 v[62:63], v[62:63], 2.0, -v[56:57]
	v_fma_f64 v[66:67], v[52:53], s[2:3], v[44:45]
	v_fma_f64 v[60:61], v[60:61], 2.0, -v[58:59]
	v_fma_f64 v[64:65], v[54:55], s[2:3], v[46:47]
	v_fma_f64 v[20:21], v[20:21], 2.0, -v[12:13]
	v_fma_f64 v[22:23], v[22:23], 2.0, -v[14:15]
	v_add_f64 v[28:29], v[8:9], -v[28:29]
	v_add_f64 v[30:31], v[10:11], -v[30:31]
	v_fma_f64 v[38:39], v[38:39], 2.0, -v[40:41]
	v_fma_f64 v[70:71], v[40:41], s[2:3], v[56:57]
	v_fma_f64 v[36:37], v[36:37], 2.0, -v[42:43]
	v_fma_f64 v[68:69], v[42:43], s[2:3], v[58:59]
	v_fma_f64 v[4:5], v[4:5], 2.0, -v[16:17]
	v_fma_f64 v[6:7], v[6:7], 2.0, -v[18:19]
	v_add_f64 v[80:81], v[12:13], v[18:19]
	v_fma_f64 v[72:73], v[48:49], s[0:1], v[32:33]
	v_fma_f64 v[74:75], v[50:51], s[0:1], v[34:35]
	v_add_f64 v[82:83], v[14:15], -v[16:17]
	v_fma_f64 v[0:1], v[0:1], 2.0, -v[24:25]
	v_fma_f64 v[66:67], v[54:55], s[0:1], v[66:67]
	v_fma_f64 v[2:3], v[2:3], 2.0, -v[26:27]
	v_fma_f64 v[64:65], v[52:53], s[2:3], v[64:65]
	v_add_f64 v[18:19], v[26:27], -v[28:29]
	v_fma_f64 v[10:11], v[10:11], 2.0, -v[30:31]
	v_fma_f64 v[78:79], v[38:39], s[0:1], v[62:63]
	v_add_f64 v[16:17], v[24:25], v[30:31]
	v_fma_f64 v[30:31], v[42:43], s[0:1], v[70:71]
	v_fma_f64 v[8:9], v[8:9], 2.0, -v[28:29]
	v_fma_f64 v[76:77], v[36:37], s[0:1], v[60:61]
	v_fma_f64 v[28:29], v[40:41], s[2:3], v[68:69]
	v_add_f64 v[40:41], v[20:21], -v[4:5]
	v_fma_f64 v[52:53], v[50:51], s[2:3], v[72:73]
	v_fma_f64 v[54:55], v[48:49], s[0:1], v[74:75]
	v_fma_f64 v[48:49], v[12:13], 2.0, -v[80:81]
	v_add_f64 v[42:43], v[22:23], -v[6:7]
	v_fma_f64 v[70:71], v[44:45], 2.0, -v[66:67]
	v_fma_f64 v[50:51], v[14:15], 2.0, -v[82:83]
	;; [unrolled: 1-line block ×4, first 2 shown]
	v_add_f64 v[6:7], v[2:3], -v[10:11]
	v_fma_f64 v[36:37], v[36:37], s[0:1], v[78:79]
	v_fma_f64 v[14:15], v[24:25], 2.0, -v[16:17]
	v_fma_f64 v[26:27], v[56:57], 2.0, -v[30:31]
	v_add_f64 v[4:5], v[0:1], -v[8:9]
	v_fma_f64 v[38:39], v[38:39], s[2:3], v[76:77]
	v_fma_f64 v[24:25], v[58:59], 2.0, -v[28:29]
	v_fma_f64 v[44:45], v[20:21], 2.0, -v[40:41]
	;; [unrolled: 1-line block ×3, first 2 shown]
	v_fma_f64 v[20:21], v[16:17], s[2:3], v[80:81]
	v_fma_f64 v[84:85], v[28:29], s[18:19], v[64:65]
	v_fma_f64 v[46:47], v[22:23], 2.0, -v[42:43]
	v_fma_f64 v[74:75], v[34:35], 2.0, -v[54:55]
	v_fma_f64 v[22:23], v[18:19], s[2:3], v[82:83]
	v_fma_f64 v[86:87], v[30:31], s[18:19], v[66:67]
	;; [unrolled: 1-line block ×3, first 2 shown]
	v_fma_f64 v[10:11], v[2:3], 2.0, -v[6:7]
	v_fma_f64 v[32:33], v[62:63], 2.0, -v[36:37]
	v_fma_f64 v[56:57], v[14:15], s[0:1], v[48:49]
	v_fma_f64 v[62:63], v[26:27], s[16:17], v[70:71]
	v_fma_f64 v[8:9], v[0:1], 2.0, -v[4:5]
	v_fma_f64 v[34:35], v[60:61], 2.0, -v[38:39]
	v_fma_f64 v[60:61], v[24:25], s[16:17], v[68:69]
	v_add_f64 v[2:3], v[42:43], -v[4:5]
	v_fma_f64 v[76:77], v[38:39], s[10:11], v[52:53]
	v_fma_f64 v[4:5], v[18:19], s[2:3], v[20:21]
	;; [unrolled: 1-line block ×3, first 2 shown]
	v_add_f64 v[0:1], v[40:41], v[6:7]
	v_fma_f64 v[6:7], v[16:17], s[0:1], v[22:23]
	v_fma_f64 v[14:15], v[14:15], s[0:1], v[58:59]
	v_add_f64 v[10:11], v[46:47], -v[10:11]
	v_fma_f64 v[90:91], v[32:33], s[8:9], v[74:75]
	v_fma_f64 v[12:13], v[12:13], s[2:3], v[56:57]
	;; [unrolled: 1-line block ×5, first 2 shown]
	v_add_f64 v[8:9], v[44:45], -v[8:9]
	v_fma_f64 v[16:17], v[26:27], s[18:19], v[60:61]
	v_fma_f64 v[20:21], v[36:37], s[18:19], v[76:77]
	;; [unrolled: 1-line block ×4, first 2 shown]
	v_fma_f64 v[28:29], v[40:41], 2.0, -v[0:1]
	v_fma_f64 v[30:31], v[42:43], 2.0, -v[2:3]
	;; [unrolled: 1-line block ×5, first 2 shown]
	v_fma_f64 v[34:35], v[34:35], s[16:17], v[90:91]
	v_fma_f64 v[46:47], v[50:51], 2.0, -v[14:15]
	v_fma_f64 v[50:51], v[70:71], 2.0, -v[18:19]
	;; [unrolled: 1-line block ×3, first 2 shown]
	buffer_load_dword v64, off, s[60:63], 0 offset:188 ; 4-byte Folded Reload
	v_fma_f64 v[32:33], v[32:33], s[10:11], v[88:89]
	v_fma_f64 v[40:41], v[44:45], 2.0, -v[8:9]
	v_fma_f64 v[44:45], v[48:49], 2.0, -v[12:13]
	;; [unrolled: 1-line block ×8, first 2 shown]
	s_waitcnt vmcnt(0)
	ds_write_b128 v64, v[40:43]
	ds_write_b128 v210, v[44:47] offset:1088
	ds_write_b128 v210, v[48:51] offset:1632
	;; [unrolled: 1-line block ×15, first 2 shown]
	s_waitcnt lgkmcnt(0)
	s_barrier
	buffer_gl0_inv
	s_and_b32 exec_lo, exec_lo, vcc_lo
	s_cbranch_execz .LBB0_15
; %bb.14:
	global_load_dwordx4 v[0:3], v206, s[12:13]
	ds_read_b128 v[4:7], v208
	v_mad_u64_u32 v[10:11], null, s6, v207, 0
	s_mov_b32 s0, 0x1e1e1e1e
	s_mov_b32 s1, 0x3f5e1e1e
	s_waitcnt vmcnt(0) lgkmcnt(0)
	v_mul_f64 v[8:9], v[6:7], v[2:3]
	v_mul_f64 v[2:3], v[4:5], v[2:3]
	v_fma_f64 v[4:5], v[4:5], v[0:1], v[8:9]
	v_fma_f64 v[0:1], v[0:1], v[6:7], -v[2:3]
	v_mad_u64_u32 v[6:7], null, s4, v220, 0
	v_mov_b32_e32 v2, v11
	v_mov_b32_e32 v3, v7
	v_mad_u64_u32 v[7:8], null, s7, v207, v[2:3]
	v_mad_u64_u32 v[8:9], null, s5, v220, v[3:4]
	v_mov_b32_e32 v11, v7
	v_mul_f64 v[2:3], v[4:5], s[0:1]
	v_mul_f64 v[4:5], v[0:1], s[0:1]
	v_lshlrev_b64 v[0:1], 4, v[10:11]
	v_mov_b32_e32 v7, v8
	v_add_co_u32 v0, vcc_lo, s14, v0
	v_lshlrev_b64 v[6:7], 4, v[6:7]
	v_add_co_ci_u32_e32 v1, vcc_lo, s15, v1, vcc_lo
	v_add_co_u32 v6, vcc_lo, v0, v6
	v_add_co_ci_u32_e32 v7, vcc_lo, v1, v7, vcc_lo
	global_store_dwordx4 v[6:7], v[2:5], off
	global_load_dwordx4 v[2:5], v206, s[12:13] offset:512
	ds_read_b128 v[6:9], v210 offset:512
	ds_read_b128 v[10:13], v210 offset:1024
	s_waitcnt vmcnt(0) lgkmcnt(1)
	v_mul_f64 v[14:15], v[8:9], v[4:5]
	v_mul_f64 v[4:5], v[6:7], v[4:5]
	v_fma_f64 v[6:7], v[6:7], v[2:3], v[14:15]
	v_fma_f64 v[4:5], v[2:3], v[8:9], -v[4:5]
	buffer_load_dword v3, off, s[60:63], 0 offset:232 ; 4-byte Folded Reload
	v_mul_f64 v[4:5], v[4:5], s[0:1]
	s_waitcnt vmcnt(0)
	v_mad_u64_u32 v[8:9], null, s4, v3, 0
	v_mov_b32_e32 v2, v9
	v_mad_u64_u32 v[14:15], null, s5, v3, v[2:3]
	v_mul_f64 v[2:3], v[6:7], s[0:1]
	v_mov_b32_e32 v9, v14
	v_lshlrev_b64 v[6:7], 4, v[8:9]
	v_add_co_u32 v6, vcc_lo, v0, v6
	v_add_co_ci_u32_e32 v7, vcc_lo, v1, v7, vcc_lo
	global_store_dwordx4 v[6:7], v[2:5], off
	global_load_dwordx4 v[2:5], v206, s[12:13] offset:1024
	s_waitcnt vmcnt(0) lgkmcnt(0)
	v_mul_f64 v[6:7], v[12:13], v[4:5]
	v_mul_f64 v[4:5], v[10:11], v[4:5]
	v_fma_f64 v[6:7], v[10:11], v[2:3], v[6:7]
	v_fma_f64 v[4:5], v[2:3], v[12:13], -v[4:5]
	buffer_load_dword v3, off, s[60:63], 0 offset:228 ; 4-byte Folded Reload
	v_mul_f64 v[4:5], v[4:5], s[0:1]
	s_waitcnt vmcnt(0)
	v_mad_u64_u32 v[8:9], null, s4, v3, 0
	v_mov_b32_e32 v2, v9
	v_mad_u64_u32 v[9:10], null, s5, v3, v[2:3]
	v_mul_f64 v[2:3], v[6:7], s[0:1]
	v_lshlrev_b64 v[6:7], 4, v[8:9]
	v_add_co_u32 v6, vcc_lo, v0, v6
	v_add_co_ci_u32_e32 v7, vcc_lo, v1, v7, vcc_lo
	global_store_dwordx4 v[6:7], v[2:5], off
	global_load_dwordx4 v[2:5], v206, s[12:13] offset:1536
	ds_read_b128 v[6:9], v210 offset:1536
	ds_read_b128 v[10:13], v210 offset:2048
	buffer_load_dword v16, off, s[60:63], 0 offset:216 ; 4-byte Folded Reload
	s_waitcnt vmcnt(1) lgkmcnt(1)
	v_mul_f64 v[14:15], v[8:9], v[4:5]
	v_mul_f64 v[4:5], v[6:7], v[4:5]
	v_fma_f64 v[6:7], v[6:7], v[2:3], v[14:15]
	v_fma_f64 v[4:5], v[2:3], v[8:9], -v[4:5]
	buffer_load_dword v3, off, s[60:63], 0 offset:224 ; 4-byte Folded Reload
	v_mul_f64 v[4:5], v[4:5], s[0:1]
	s_waitcnt vmcnt(0)
	v_mad_u64_u32 v[8:9], null, s4, v3, 0
	v_mov_b32_e32 v2, v9
	v_mad_u64_u32 v[14:15], null, s5, v3, v[2:3]
	v_mul_f64 v[2:3], v[6:7], s[0:1]
	v_mov_b32_e32 v9, v14
	buffer_load_dword v14, off, s[60:63], 0 offset:220 ; 4-byte Folded Reload
	v_lshlrev_b64 v[6:7], 4, v[8:9]
	v_add_co_u32 v6, vcc_lo, v0, v6
	v_add_co_ci_u32_e32 v7, vcc_lo, v1, v7, vcc_lo
	global_store_dwordx4 v[6:7], v[2:5], off
	s_waitcnt vmcnt(0)
	v_lshlrev_b32_e32 v8, 4, v14
	global_load_dwordx4 v[2:5], v8, s[12:13]
	v_mad_u64_u32 v[8:9], null, s4, v14, 0
	s_waitcnt vmcnt(0) lgkmcnt(0)
	v_mul_f64 v[6:7], v[12:13], v[4:5]
	v_mul_f64 v[4:5], v[10:11], v[4:5]
	v_fma_f64 v[6:7], v[10:11], v[2:3], v[6:7]
	v_fma_f64 v[4:5], v[2:3], v[12:13], -v[4:5]
	v_mov_b32_e32 v2, v9
	v_mad_u64_u32 v[9:10], null, s5, v14, v[2:3]
	v_mul_f64 v[2:3], v[6:7], s[0:1]
	v_mul_f64 v[4:5], v[4:5], s[0:1]
	v_lshlrev_b64 v[6:7], 4, v[8:9]
	v_lshlrev_b32_e32 v8, 4, v16
	v_add_co_u32 v6, vcc_lo, v0, v6
	v_add_co_ci_u32_e32 v7, vcc_lo, v1, v7, vcc_lo
	global_store_dwordx4 v[6:7], v[2:5], off
	global_load_dwordx4 v[2:5], v8, s[12:13]
	ds_read_b128 v[6:9], v210 offset:2560
	ds_read_b128 v[10:13], v210 offset:3072
	s_waitcnt vmcnt(0) lgkmcnt(1)
	v_mul_f64 v[14:15], v[8:9], v[4:5]
	v_mul_f64 v[4:5], v[6:7], v[4:5]
	v_fma_f64 v[6:7], v[6:7], v[2:3], v[14:15]
	v_fma_f64 v[4:5], v[2:3], v[8:9], -v[4:5]
	v_mad_u64_u32 v[8:9], null, s4, v16, 0
	v_mov_b32_e32 v2, v9
	v_mad_u64_u32 v[14:15], null, s5, v16, v[2:3]
	buffer_load_dword v16, off, s[60:63], 0 offset:208 ; 4-byte Folded Reload
	v_mul_f64 v[2:3], v[6:7], s[0:1]
	v_mov_b32_e32 v9, v14
	buffer_load_dword v14, off, s[60:63], 0 offset:212 ; 4-byte Folded Reload
	v_mul_f64 v[4:5], v[4:5], s[0:1]
	v_lshlrev_b64 v[6:7], 4, v[8:9]
	v_add_co_u32 v6, vcc_lo, v0, v6
	v_add_co_ci_u32_e32 v7, vcc_lo, v1, v7, vcc_lo
	global_store_dwordx4 v[6:7], v[2:5], off
	s_waitcnt vmcnt(0)
	v_lshlrev_b32_e32 v8, 4, v14
	global_load_dwordx4 v[2:5], v8, s[12:13]
	v_mad_u64_u32 v[8:9], null, s4, v14, 0
	s_waitcnt vmcnt(0) lgkmcnt(0)
	v_mul_f64 v[6:7], v[12:13], v[4:5]
	v_mul_f64 v[4:5], v[10:11], v[4:5]
	v_fma_f64 v[6:7], v[10:11], v[2:3], v[6:7]
	v_fma_f64 v[4:5], v[2:3], v[12:13], -v[4:5]
	v_mov_b32_e32 v2, v9
	v_mad_u64_u32 v[9:10], null, s5, v14, v[2:3]
	v_mul_f64 v[2:3], v[6:7], s[0:1]
	v_mul_f64 v[4:5], v[4:5], s[0:1]
	v_lshlrev_b64 v[6:7], 4, v[8:9]
	v_lshlrev_b32_e32 v8, 4, v16
	v_add_co_u32 v6, vcc_lo, v0, v6
	v_add_co_ci_u32_e32 v7, vcc_lo, v1, v7, vcc_lo
	global_store_dwordx4 v[6:7], v[2:5], off
	global_load_dwordx4 v[2:5], v8, s[12:13]
	ds_read_b128 v[6:9], v210 offset:3584
	ds_read_b128 v[10:13], v210 offset:4096
	s_waitcnt vmcnt(0) lgkmcnt(1)
	v_mul_f64 v[14:15], v[8:9], v[4:5]
	v_mul_f64 v[4:5], v[6:7], v[4:5]
	v_fma_f64 v[6:7], v[6:7], v[2:3], v[14:15]
	v_fma_f64 v[4:5], v[2:3], v[8:9], -v[4:5]
	v_mad_u64_u32 v[8:9], null, s4, v16, 0
	v_mov_b32_e32 v2, v9
	v_mad_u64_u32 v[14:15], null, s5, v16, v[2:3]
	buffer_load_dword v16, off, s[60:63], 0 offset:200 ; 4-byte Folded Reload
	v_mul_f64 v[2:3], v[6:7], s[0:1]
	v_mov_b32_e32 v9, v14
	buffer_load_dword v14, off, s[60:63], 0 offset:204 ; 4-byte Folded Reload
	v_mul_f64 v[4:5], v[4:5], s[0:1]
	v_lshlrev_b64 v[6:7], 4, v[8:9]
	v_add_co_u32 v6, vcc_lo, v0, v6
	v_add_co_ci_u32_e32 v7, vcc_lo, v1, v7, vcc_lo
	global_store_dwordx4 v[6:7], v[2:5], off
	s_waitcnt vmcnt(0)
	v_lshlrev_b32_e32 v8, 4, v14
	global_load_dwordx4 v[2:5], v8, s[12:13]
	v_mad_u64_u32 v[8:9], null, s4, v14, 0
	s_waitcnt vmcnt(0) lgkmcnt(0)
	v_mul_f64 v[6:7], v[12:13], v[4:5]
	v_mul_f64 v[4:5], v[10:11], v[4:5]
	v_fma_f64 v[6:7], v[10:11], v[2:3], v[6:7]
	v_fma_f64 v[4:5], v[2:3], v[12:13], -v[4:5]
	v_mov_b32_e32 v2, v9
	v_mad_u64_u32 v[9:10], null, s5, v14, v[2:3]
	v_mul_f64 v[2:3], v[6:7], s[0:1]
	v_mul_f64 v[4:5], v[4:5], s[0:1]
	v_lshlrev_b64 v[6:7], 4, v[8:9]
	v_lshlrev_b32_e32 v8, 4, v16
	v_add_co_u32 v6, vcc_lo, v0, v6
	v_add_co_ci_u32_e32 v7, vcc_lo, v1, v7, vcc_lo
	global_store_dwordx4 v[6:7], v[2:5], off
	global_load_dwordx4 v[2:5], v8, s[12:13]
	ds_read_b128 v[6:9], v210 offset:4608
	ds_read_b128 v[10:13], v210 offset:5120
	s_waitcnt vmcnt(0) lgkmcnt(1)
	v_mul_f64 v[14:15], v[8:9], v[4:5]
	v_mul_f64 v[4:5], v[6:7], v[4:5]
	v_fma_f64 v[6:7], v[6:7], v[2:3], v[14:15]
	v_fma_f64 v[4:5], v[2:3], v[8:9], -v[4:5]
	v_mad_u64_u32 v[8:9], null, s4, v16, 0
	v_mov_b32_e32 v2, v9
	v_mad_u64_u32 v[14:15], null, s5, v16, v[2:3]
	v_or_b32_e32 v16, 0x1e0, v220
	v_mul_f64 v[2:3], v[6:7], s[0:1]
	v_mov_b32_e32 v9, v14
	buffer_load_dword v14, off, s[60:63], 0 offset:196 ; 4-byte Folded Reload
	v_mul_f64 v[4:5], v[4:5], s[0:1]
	v_lshlrev_b64 v[6:7], 4, v[8:9]
	v_add_co_u32 v6, vcc_lo, v0, v6
	v_add_co_ci_u32_e32 v7, vcc_lo, v1, v7, vcc_lo
	global_store_dwordx4 v[6:7], v[2:5], off
	s_waitcnt vmcnt(0)
	v_lshlrev_b32_e32 v8, 4, v14
	global_load_dwordx4 v[2:5], v8, s[12:13]
	v_mad_u64_u32 v[8:9], null, s4, v14, 0
	s_waitcnt vmcnt(0) lgkmcnt(0)
	v_mul_f64 v[6:7], v[12:13], v[4:5]
	v_mul_f64 v[4:5], v[10:11], v[4:5]
	v_fma_f64 v[6:7], v[10:11], v[2:3], v[6:7]
	v_fma_f64 v[4:5], v[2:3], v[12:13], -v[4:5]
	v_mov_b32_e32 v2, v9
	v_mad_u64_u32 v[9:10], null, s5, v14, v[2:3]
	v_mul_f64 v[2:3], v[6:7], s[0:1]
	v_mul_f64 v[4:5], v[4:5], s[0:1]
	v_lshlrev_b64 v[6:7], 4, v[8:9]
	v_lshlrev_b32_e32 v8, 4, v253
	v_add_co_u32 v6, vcc_lo, v0, v6
	v_add_co_ci_u32_e32 v7, vcc_lo, v1, v7, vcc_lo
	global_store_dwordx4 v[6:7], v[2:5], off
	global_load_dwordx4 v[2:5], v8, s[12:13]
	ds_read_b128 v[6:9], v210 offset:5632
	ds_read_b128 v[10:13], v210 offset:6144
	s_waitcnt vmcnt(0) lgkmcnt(1)
	v_mul_f64 v[14:15], v[8:9], v[4:5]
	v_mul_f64 v[4:5], v[6:7], v[4:5]
	v_fma_f64 v[6:7], v[6:7], v[2:3], v[14:15]
	v_fma_f64 v[4:5], v[2:3], v[8:9], -v[4:5]
	v_mad_u64_u32 v[8:9], null, s4, v253, 0
	v_mov_b32_e32 v2, v9
	v_mad_u64_u32 v[14:15], null, s5, v253, v[2:3]
	v_mul_f64 v[2:3], v[6:7], s[0:1]
	v_mul_f64 v[4:5], v[4:5], s[0:1]
	v_mov_b32_e32 v9, v14
	v_lshlrev_b64 v[6:7], 4, v[8:9]
	v_lshlrev_b32_e32 v8, 4, v193
	v_add_co_u32 v6, vcc_lo, v0, v6
	v_add_co_ci_u32_e32 v7, vcc_lo, v1, v7, vcc_lo
	global_store_dwordx4 v[6:7], v[2:5], off
	global_load_dwordx4 v[2:5], v8, s[12:13]
	v_mad_u64_u32 v[8:9], null, s4, v193, 0
	s_waitcnt vmcnt(0) lgkmcnt(0)
	v_mul_f64 v[6:7], v[12:13], v[4:5]
	v_mul_f64 v[4:5], v[10:11], v[4:5]
	v_fma_f64 v[6:7], v[10:11], v[2:3], v[6:7]
	v_fma_f64 v[4:5], v[2:3], v[12:13], -v[4:5]
	v_mov_b32_e32 v2, v9
	v_mad_u64_u32 v[9:10], null, s5, v193, v[2:3]
	v_mul_f64 v[2:3], v[6:7], s[0:1]
	v_mul_f64 v[4:5], v[4:5], s[0:1]
	v_lshlrev_b64 v[6:7], 4, v[8:9]
	v_lshlrev_b32_e32 v8, 4, v188
	v_add_co_u32 v6, vcc_lo, v0, v6
	v_add_co_ci_u32_e32 v7, vcc_lo, v1, v7, vcc_lo
	global_store_dwordx4 v[6:7], v[2:5], off
	global_load_dwordx4 v[2:5], v8, s[12:13]
	ds_read_b128 v[6:9], v210 offset:6656
	ds_read_b128 v[10:13], v210 offset:7168
	s_waitcnt vmcnt(0) lgkmcnt(1)
	v_mul_f64 v[14:15], v[8:9], v[4:5]
	v_mul_f64 v[4:5], v[6:7], v[4:5]
	v_fma_f64 v[6:7], v[6:7], v[2:3], v[14:15]
	v_fma_f64 v[4:5], v[2:3], v[8:9], -v[4:5]
	v_mad_u64_u32 v[8:9], null, s4, v188, 0
	v_mov_b32_e32 v2, v9
	v_mad_u64_u32 v[14:15], null, s5, v188, v[2:3]
	v_mul_f64 v[2:3], v[6:7], s[0:1]
	v_mul_f64 v[4:5], v[4:5], s[0:1]
	v_mov_b32_e32 v9, v14
	v_or_b32_e32 v14, 0x1c0, v220
	v_lshlrev_b64 v[6:7], 4, v[8:9]
	v_lshlrev_b32_e32 v8, 4, v14
	v_add_co_u32 v6, vcc_lo, v0, v6
	v_add_co_ci_u32_e32 v7, vcc_lo, v1, v7, vcc_lo
	global_store_dwordx4 v[6:7], v[2:5], off
	global_load_dwordx4 v[2:5], v8, s[12:13]
	v_mad_u64_u32 v[8:9], null, s4, v14, 0
	s_waitcnt vmcnt(0) lgkmcnt(0)
	v_mul_f64 v[6:7], v[12:13], v[4:5]
	v_mul_f64 v[4:5], v[10:11], v[4:5]
	v_fma_f64 v[6:7], v[10:11], v[2:3], v[6:7]
	v_fma_f64 v[4:5], v[2:3], v[12:13], -v[4:5]
	v_mov_b32_e32 v2, v9
	v_mad_u64_u32 v[9:10], null, s5, v14, v[2:3]
	v_mul_f64 v[2:3], v[6:7], s[0:1]
	v_mul_f64 v[4:5], v[4:5], s[0:1]
	v_lshlrev_b64 v[6:7], 4, v[8:9]
	v_lshlrev_b32_e32 v8, 4, v16
	v_add_co_u32 v6, vcc_lo, v0, v6
	v_add_co_ci_u32_e32 v7, vcc_lo, v1, v7, vcc_lo
	global_store_dwordx4 v[6:7], v[2:5], off
	global_load_dwordx4 v[2:5], v8, s[12:13]
	ds_read_b128 v[6:9], v210 offset:7680
	ds_read_b128 v[10:13], v210 offset:8192
	s_waitcnt vmcnt(0) lgkmcnt(1)
	v_mul_f64 v[14:15], v[8:9], v[4:5]
	v_mul_f64 v[4:5], v[6:7], v[4:5]
	v_fma_f64 v[6:7], v[6:7], v[2:3], v[14:15]
	v_fma_f64 v[4:5], v[2:3], v[8:9], -v[4:5]
	v_mad_u64_u32 v[8:9], null, s4, v16, 0
	v_mov_b32_e32 v2, v9
	v_mad_u64_u32 v[14:15], null, s5, v16, v[2:3]
	v_mul_f64 v[2:3], v[6:7], s[0:1]
	v_mul_f64 v[4:5], v[4:5], s[0:1]
	v_mov_b32_e32 v9, v14
	v_or_b32_e32 v14, 0x200, v220
	v_lshlrev_b64 v[6:7], 4, v[8:9]
	v_lshlrev_b32_e32 v8, 4, v14
	v_add_co_u32 v6, vcc_lo, v0, v6
	v_add_co_ci_u32_e32 v7, vcc_lo, v1, v7, vcc_lo
	global_store_dwordx4 v[6:7], v[2:5], off
	global_load_dwordx4 v[2:5], v8, s[12:13]
	v_mad_u64_u32 v[8:9], null, s4, v14, 0
	s_waitcnt vmcnt(0) lgkmcnt(0)
	v_mul_f64 v[6:7], v[12:13], v[4:5]
	v_mul_f64 v[4:5], v[10:11], v[4:5]
	v_fma_f64 v[6:7], v[10:11], v[2:3], v[6:7]
	v_fma_f64 v[4:5], v[2:3], v[12:13], -v[4:5]
	v_mov_b32_e32 v2, v9
                                        ; kill: def $vgpr3 killed $sgpr0 killed $exec
	v_mad_u64_u32 v[9:10], null, s5, v14, v[2:3]
	v_mul_f64 v[2:3], v[6:7], s[0:1]
	v_mul_f64 v[4:5], v[4:5], s[0:1]
	v_lshlrev_b64 v[6:7], 4, v[8:9]
	v_add_co_u32 v0, vcc_lo, v0, v6
	v_add_co_ci_u32_e32 v1, vcc_lo, v1, v7, vcc_lo
	global_store_dwordx4 v[0:1], v[2:5], off
.LBB0_15:
	s_endpgm
	.section	.rodata,"a",@progbits
	.p2align	6, 0x0
	.amdhsa_kernel bluestein_single_back_len544_dim1_dp_op_CI_CI
		.amdhsa_group_segment_fixed_size 26112
		.amdhsa_private_segment_fixed_size 360
		.amdhsa_kernarg_size 104
		.amdhsa_user_sgpr_count 6
		.amdhsa_user_sgpr_private_segment_buffer 1
		.amdhsa_user_sgpr_dispatch_ptr 0
		.amdhsa_user_sgpr_queue_ptr 0
		.amdhsa_user_sgpr_kernarg_segment_ptr 1
		.amdhsa_user_sgpr_dispatch_id 0
		.amdhsa_user_sgpr_flat_scratch_init 0
		.amdhsa_user_sgpr_private_segment_size 0
		.amdhsa_wavefront_size32 1
		.amdhsa_uses_dynamic_stack 0
		.amdhsa_system_sgpr_private_segment_wavefront_offset 1
		.amdhsa_system_sgpr_workgroup_id_x 1
		.amdhsa_system_sgpr_workgroup_id_y 0
		.amdhsa_system_sgpr_workgroup_id_z 0
		.amdhsa_system_sgpr_workgroup_info 0
		.amdhsa_system_vgpr_workitem_id 0
		.amdhsa_next_free_vgpr 256
		.amdhsa_next_free_sgpr 64
		.amdhsa_reserve_vcc 1
		.amdhsa_reserve_flat_scratch 0
		.amdhsa_float_round_mode_32 0
		.amdhsa_float_round_mode_16_64 0
		.amdhsa_float_denorm_mode_32 3
		.amdhsa_float_denorm_mode_16_64 3
		.amdhsa_dx10_clamp 1
		.amdhsa_ieee_mode 1
		.amdhsa_fp16_overflow 0
		.amdhsa_workgroup_processor_mode 1
		.amdhsa_memory_ordered 1
		.amdhsa_forward_progress 0
		.amdhsa_shared_vgpr_count 0
		.amdhsa_exception_fp_ieee_invalid_op 0
		.amdhsa_exception_fp_denorm_src 0
		.amdhsa_exception_fp_ieee_div_zero 0
		.amdhsa_exception_fp_ieee_overflow 0
		.amdhsa_exception_fp_ieee_underflow 0
		.amdhsa_exception_fp_ieee_inexact 0
		.amdhsa_exception_int_div_zero 0
	.end_amdhsa_kernel
	.text
.Lfunc_end0:
	.size	bluestein_single_back_len544_dim1_dp_op_CI_CI, .Lfunc_end0-bluestein_single_back_len544_dim1_dp_op_CI_CI
                                        ; -- End function
	.section	.AMDGPU.csdata,"",@progbits
; Kernel info:
; codeLenInByte = 26944
; NumSgprs: 66
; NumVgprs: 256
; ScratchSize: 360
; MemoryBound: 0
; FloatMode: 240
; IeeeMode: 1
; LDSByteSize: 26112 bytes/workgroup (compile time only)
; SGPRBlocks: 8
; VGPRBlocks: 31
; NumSGPRsForWavesPerEU: 66
; NumVGPRsForWavesPerEU: 256
; Occupancy: 4
; WaveLimiterHint : 1
; COMPUTE_PGM_RSRC2:SCRATCH_EN: 1
; COMPUTE_PGM_RSRC2:USER_SGPR: 6
; COMPUTE_PGM_RSRC2:TRAP_HANDLER: 0
; COMPUTE_PGM_RSRC2:TGID_X_EN: 1
; COMPUTE_PGM_RSRC2:TGID_Y_EN: 0
; COMPUTE_PGM_RSRC2:TGID_Z_EN: 0
; COMPUTE_PGM_RSRC2:TIDIG_COMP_CNT: 0
	.text
	.p2alignl 6, 3214868480
	.fill 48, 4, 3214868480
	.type	__hip_cuid_62d0eac41e7a917c,@object ; @__hip_cuid_62d0eac41e7a917c
	.section	.bss,"aw",@nobits
	.globl	__hip_cuid_62d0eac41e7a917c
__hip_cuid_62d0eac41e7a917c:
	.byte	0                               ; 0x0
	.size	__hip_cuid_62d0eac41e7a917c, 1

	.ident	"AMD clang version 19.0.0git (https://github.com/RadeonOpenCompute/llvm-project roc-6.4.0 25133 c7fe45cf4b819c5991fe208aaa96edf142730f1d)"
	.section	".note.GNU-stack","",@progbits
	.addrsig
	.addrsig_sym __hip_cuid_62d0eac41e7a917c
	.amdgpu_metadata
---
amdhsa.kernels:
  - .args:
      - .actual_access:  read_only
        .address_space:  global
        .offset:         0
        .size:           8
        .value_kind:     global_buffer
      - .actual_access:  read_only
        .address_space:  global
        .offset:         8
        .size:           8
        .value_kind:     global_buffer
      - .actual_access:  read_only
        .address_space:  global
        .offset:         16
        .size:           8
        .value_kind:     global_buffer
      - .actual_access:  read_only
        .address_space:  global
        .offset:         24
        .size:           8
        .value_kind:     global_buffer
      - .actual_access:  read_only
        .address_space:  global
        .offset:         32
        .size:           8
        .value_kind:     global_buffer
      - .offset:         40
        .size:           8
        .value_kind:     by_value
      - .address_space:  global
        .offset:         48
        .size:           8
        .value_kind:     global_buffer
      - .address_space:  global
        .offset:         56
        .size:           8
        .value_kind:     global_buffer
      - .address_space:  global
        .offset:         64
        .size:           8
        .value_kind:     global_buffer
      - .address_space:  global
        .offset:         72
        .size:           8
        .value_kind:     global_buffer
      - .offset:         80
        .size:           4
        .value_kind:     by_value
      - .address_space:  global
        .offset:         88
        .size:           8
        .value_kind:     global_buffer
      - .address_space:  global
        .offset:         96
        .size:           8
        .value_kind:     global_buffer
    .group_segment_fixed_size: 26112
    .kernarg_segment_align: 8
    .kernarg_segment_size: 104
    .language:       OpenCL C
    .language_version:
      - 2
      - 0
    .max_flat_workgroup_size: 102
    .name:           bluestein_single_back_len544_dim1_dp_op_CI_CI
    .private_segment_fixed_size: 360
    .sgpr_count:     66
    .sgpr_spill_count: 0
    .symbol:         bluestein_single_back_len544_dim1_dp_op_CI_CI.kd
    .uniform_work_group_size: 1
    .uses_dynamic_stack: false
    .vgpr_count:     256
    .vgpr_spill_count: 89
    .wavefront_size: 32
    .workgroup_processor_mode: 1
amdhsa.target:   amdgcn-amd-amdhsa--gfx1030
amdhsa.version:
  - 1
  - 2
...

	.end_amdgpu_metadata
